;; amdgpu-corpus repo=ROCm/rocFFT kind=compiled arch=gfx906 opt=O3
	.text
	.amdgcn_target "amdgcn-amd-amdhsa--gfx906"
	.amdhsa_code_object_version 6
	.protected	fft_rtc_back_len2160_factors_10_6_6_6_wgs_60_tpt_60_halfLds_sp_op_CI_CI_unitstride_sbrr_C2R_dirReg ; -- Begin function fft_rtc_back_len2160_factors_10_6_6_6_wgs_60_tpt_60_halfLds_sp_op_CI_CI_unitstride_sbrr_C2R_dirReg
	.globl	fft_rtc_back_len2160_factors_10_6_6_6_wgs_60_tpt_60_halfLds_sp_op_CI_CI_unitstride_sbrr_C2R_dirReg
	.p2align	8
	.type	fft_rtc_back_len2160_factors_10_6_6_6_wgs_60_tpt_60_halfLds_sp_op_CI_CI_unitstride_sbrr_C2R_dirReg,@function
fft_rtc_back_len2160_factors_10_6_6_6_wgs_60_tpt_60_halfLds_sp_op_CI_CI_unitstride_sbrr_C2R_dirReg: ; @fft_rtc_back_len2160_factors_10_6_6_6_wgs_60_tpt_60_halfLds_sp_op_CI_CI_unitstride_sbrr_C2R_dirReg
; %bb.0:
	s_load_dwordx4 s[8:11], s[4:5], 0x58
	s_load_dwordx4 s[12:15], s[4:5], 0x0
	;; [unrolled: 1-line block ×3, first 2 shown]
	v_mul_u32_u24_e32 v1, 0x445, v0
	v_add_u32_sdwa v5, s6, v1 dst_sel:DWORD dst_unused:UNUSED_PAD src0_sel:DWORD src1_sel:WORD_1
	v_mov_b32_e32 v3, 0
	s_waitcnt lgkmcnt(0)
	v_cmp_lt_u64_e64 s[0:1], s[14:15], 2
	v_mov_b32_e32 v1, 0
	v_mov_b32_e32 v6, v3
	s_and_b64 vcc, exec, s[0:1]
	v_mov_b32_e32 v2, 0
	s_cbranch_vccnz .LBB0_8
; %bb.1:
	s_load_dwordx2 s[0:1], s[4:5], 0x10
	s_add_u32 s2, s18, 8
	s_addc_u32 s3, s19, 0
	s_add_u32 s6, s16, 8
	v_mov_b32_e32 v1, 0
	s_addc_u32 s7, s17, 0
	v_mov_b32_e32 v2, 0
	s_waitcnt lgkmcnt(0)
	s_add_u32 s20, s0, 8
	v_mov_b32_e32 v83, v2
	s_addc_u32 s21, s1, 0
	s_mov_b64 s[22:23], 1
	v_mov_b32_e32 v82, v1
.LBB0_2:                                ; =>This Inner Loop Header: Depth=1
	s_load_dwordx2 s[24:25], s[20:21], 0x0
                                        ; implicit-def: $vgpr84_vgpr85
	s_waitcnt lgkmcnt(0)
	v_or_b32_e32 v4, s25, v6
	v_cmp_ne_u64_e32 vcc, 0, v[3:4]
	s_and_saveexec_b64 s[0:1], vcc
	s_xor_b64 s[26:27], exec, s[0:1]
	s_cbranch_execz .LBB0_4
; %bb.3:                                ;   in Loop: Header=BB0_2 Depth=1
	v_cvt_f32_u32_e32 v4, s24
	v_cvt_f32_u32_e32 v7, s25
	s_sub_u32 s0, 0, s24
	s_subb_u32 s1, 0, s25
	v_mac_f32_e32 v4, 0x4f800000, v7
	v_rcp_f32_e32 v4, v4
	v_mul_f32_e32 v4, 0x5f7ffffc, v4
	v_mul_f32_e32 v7, 0x2f800000, v4
	v_trunc_f32_e32 v7, v7
	v_mac_f32_e32 v4, 0xcf800000, v7
	v_cvt_u32_f32_e32 v7, v7
	v_cvt_u32_f32_e32 v4, v4
	v_mul_lo_u32 v8, s0, v7
	v_mul_hi_u32 v9, s0, v4
	v_mul_lo_u32 v11, s1, v4
	v_mul_lo_u32 v10, s0, v4
	v_add_u32_e32 v8, v9, v8
	v_add_u32_e32 v8, v8, v11
	v_mul_hi_u32 v9, v4, v10
	v_mul_lo_u32 v11, v4, v8
	v_mul_hi_u32 v13, v4, v8
	v_mul_hi_u32 v12, v7, v10
	v_mul_lo_u32 v10, v7, v10
	v_mul_hi_u32 v14, v7, v8
	v_add_co_u32_e32 v9, vcc, v9, v11
	v_addc_co_u32_e32 v11, vcc, 0, v13, vcc
	v_mul_lo_u32 v8, v7, v8
	v_add_co_u32_e32 v9, vcc, v9, v10
	v_addc_co_u32_e32 v9, vcc, v11, v12, vcc
	v_addc_co_u32_e32 v10, vcc, 0, v14, vcc
	v_add_co_u32_e32 v8, vcc, v9, v8
	v_addc_co_u32_e32 v9, vcc, 0, v10, vcc
	v_add_co_u32_e32 v4, vcc, v4, v8
	v_addc_co_u32_e32 v7, vcc, v7, v9, vcc
	v_mul_lo_u32 v8, s0, v7
	v_mul_hi_u32 v9, s0, v4
	v_mul_lo_u32 v10, s1, v4
	v_mul_lo_u32 v11, s0, v4
	v_add_u32_e32 v8, v9, v8
	v_add_u32_e32 v8, v8, v10
	v_mul_lo_u32 v12, v4, v8
	v_mul_hi_u32 v13, v4, v11
	v_mul_hi_u32 v14, v4, v8
	v_mul_hi_u32 v10, v7, v11
	v_mul_lo_u32 v11, v7, v11
	v_mul_hi_u32 v9, v7, v8
	v_add_co_u32_e32 v12, vcc, v13, v12
	v_addc_co_u32_e32 v13, vcc, 0, v14, vcc
	v_mul_lo_u32 v8, v7, v8
	v_add_co_u32_e32 v11, vcc, v12, v11
	v_addc_co_u32_e32 v10, vcc, v13, v10, vcc
	v_addc_co_u32_e32 v9, vcc, 0, v9, vcc
	v_add_co_u32_e32 v8, vcc, v10, v8
	v_addc_co_u32_e32 v9, vcc, 0, v9, vcc
	v_add_co_u32_e32 v4, vcc, v4, v8
	v_addc_co_u32_e32 v9, vcc, v7, v9, vcc
	v_mad_u64_u32 v[7:8], s[0:1], v5, v9, 0
	v_mul_hi_u32 v10, v5, v4
	v_add_co_u32_e32 v11, vcc, v10, v7
	v_addc_co_u32_e32 v12, vcc, 0, v8, vcc
	v_mad_u64_u32 v[7:8], s[0:1], v6, v4, 0
	v_mad_u64_u32 v[9:10], s[0:1], v6, v9, 0
	v_add_co_u32_e32 v4, vcc, v11, v7
	v_addc_co_u32_e32 v4, vcc, v12, v8, vcc
	v_addc_co_u32_e32 v7, vcc, 0, v10, vcc
	v_add_co_u32_e32 v4, vcc, v4, v9
	v_addc_co_u32_e32 v9, vcc, 0, v7, vcc
	v_mul_lo_u32 v10, s25, v4
	v_mul_lo_u32 v11, s24, v9
	v_mad_u64_u32 v[7:8], s[0:1], s24, v4, 0
	v_add3_u32 v8, v8, v11, v10
	v_sub_u32_e32 v10, v6, v8
	v_mov_b32_e32 v11, s25
	v_sub_co_u32_e32 v7, vcc, v5, v7
	v_subb_co_u32_e64 v10, s[0:1], v10, v11, vcc
	v_subrev_co_u32_e64 v11, s[0:1], s24, v7
	v_subbrev_co_u32_e64 v10, s[0:1], 0, v10, s[0:1]
	v_cmp_le_u32_e64 s[0:1], s25, v10
	v_cndmask_b32_e64 v12, 0, -1, s[0:1]
	v_cmp_le_u32_e64 s[0:1], s24, v11
	v_cndmask_b32_e64 v11, 0, -1, s[0:1]
	v_cmp_eq_u32_e64 s[0:1], s25, v10
	v_cndmask_b32_e64 v10, v12, v11, s[0:1]
	v_add_co_u32_e64 v11, s[0:1], 2, v4
	v_addc_co_u32_e64 v12, s[0:1], 0, v9, s[0:1]
	v_add_co_u32_e64 v13, s[0:1], 1, v4
	v_addc_co_u32_e64 v14, s[0:1], 0, v9, s[0:1]
	v_subb_co_u32_e32 v8, vcc, v6, v8, vcc
	v_cmp_ne_u32_e64 s[0:1], 0, v10
	v_cmp_le_u32_e32 vcc, s25, v8
	v_cndmask_b32_e64 v10, v14, v12, s[0:1]
	v_cndmask_b32_e64 v12, 0, -1, vcc
	v_cmp_le_u32_e32 vcc, s24, v7
	v_cndmask_b32_e64 v7, 0, -1, vcc
	v_cmp_eq_u32_e32 vcc, s25, v8
	v_cndmask_b32_e32 v7, v12, v7, vcc
	v_cmp_ne_u32_e32 vcc, 0, v7
	v_cndmask_b32_e64 v7, v13, v11, s[0:1]
	v_cndmask_b32_e32 v85, v9, v10, vcc
	v_cndmask_b32_e32 v84, v4, v7, vcc
.LBB0_4:                                ;   in Loop: Header=BB0_2 Depth=1
	s_andn2_saveexec_b64 s[0:1], s[26:27]
	s_cbranch_execz .LBB0_6
; %bb.5:                                ;   in Loop: Header=BB0_2 Depth=1
	v_cvt_f32_u32_e32 v4, s24
	s_sub_i32 s26, 0, s24
	v_mov_b32_e32 v85, v3
	v_rcp_iflag_f32_e32 v4, v4
	v_mul_f32_e32 v4, 0x4f7ffffe, v4
	v_cvt_u32_f32_e32 v4, v4
	v_mul_lo_u32 v7, s26, v4
	v_mul_hi_u32 v7, v4, v7
	v_add_u32_e32 v4, v4, v7
	v_mul_hi_u32 v4, v5, v4
	v_mul_lo_u32 v7, v4, s24
	v_add_u32_e32 v8, 1, v4
	v_sub_u32_e32 v7, v5, v7
	v_subrev_u32_e32 v9, s24, v7
	v_cmp_le_u32_e32 vcc, s24, v7
	v_cndmask_b32_e32 v7, v7, v9, vcc
	v_cndmask_b32_e32 v4, v4, v8, vcc
	v_add_u32_e32 v8, 1, v4
	v_cmp_le_u32_e32 vcc, s24, v7
	v_cndmask_b32_e32 v84, v4, v8, vcc
.LBB0_6:                                ;   in Loop: Header=BB0_2 Depth=1
	s_or_b64 exec, exec, s[0:1]
	v_mul_lo_u32 v4, v85, s24
	v_mul_lo_u32 v9, v84, s25
	v_mad_u64_u32 v[7:8], s[0:1], v84, s24, 0
	s_load_dwordx2 s[0:1], s[6:7], 0x0
	s_load_dwordx2 s[24:25], s[2:3], 0x0
	v_add3_u32 v4, v8, v9, v4
	v_sub_co_u32_e32 v5, vcc, v5, v7
	v_subb_co_u32_e32 v4, vcc, v6, v4, vcc
	s_waitcnt lgkmcnt(0)
	v_mul_lo_u32 v6, s0, v4
	v_mul_lo_u32 v7, s1, v5
	v_mad_u64_u32 v[1:2], s[0:1], s0, v5, v[1:2]
	v_mul_lo_u32 v4, s24, v4
	v_mul_lo_u32 v8, s25, v5
	v_mad_u64_u32 v[82:83], s[0:1], s24, v5, v[82:83]
	s_add_u32 s22, s22, 1
	s_addc_u32 s23, s23, 0
	s_add_u32 s2, s2, 8
	v_add3_u32 v83, v8, v83, v4
	s_addc_u32 s3, s3, 0
	v_mov_b32_e32 v4, s14
	s_add_u32 s6, s6, 8
	v_mov_b32_e32 v5, s15
	s_addc_u32 s7, s7, 0
	v_cmp_ge_u64_e32 vcc, s[22:23], v[4:5]
	s_add_u32 s20, s20, 8
	v_add3_u32 v2, v7, v2, v6
	s_addc_u32 s21, s21, 0
	s_cbranch_vccnz .LBB0_9
; %bb.7:                                ;   in Loop: Header=BB0_2 Depth=1
	v_mov_b32_e32 v5, v84
	v_mov_b32_e32 v6, v85
	s_branch .LBB0_2
.LBB0_8:
	v_mov_b32_e32 v83, v2
	v_mov_b32_e32 v85, v6
	;; [unrolled: 1-line block ×4, first 2 shown]
.LBB0_9:
	s_load_dwordx2 s[4:5], s[4:5], 0x28
	s_lshl_b64 s[6:7], s[14:15], 3
	s_add_u32 s2, s18, s6
	s_addc_u32 s3, s19, s7
                                        ; implicit-def: $vgpr80
	s_waitcnt lgkmcnt(0)
	v_cmp_gt_u64_e64 s[0:1], s[4:5], v[84:85]
	v_cmp_le_u64_e32 vcc, s[4:5], v[84:85]
	s_and_saveexec_b64 s[4:5], vcc
	s_xor_b64 s[4:5], exec, s[4:5]
; %bb.10:
	s_mov_b32 s14, 0x4444445
	v_mul_hi_u32 v1, v0, s14
	v_mul_u32_u24_e32 v1, 60, v1
	v_sub_u32_e32 v80, v0, v1
                                        ; implicit-def: $vgpr0
                                        ; implicit-def: $vgpr1_vgpr2
; %bb.11:
	s_or_saveexec_b64 s[4:5], s[4:5]
	s_load_dwordx2 s[2:3], s[2:3], 0x0
	s_xor_b64 exec, exec, s[4:5]
	s_cbranch_execz .LBB0_15
; %bb.12:
	s_add_u32 s6, s16, s6
	s_addc_u32 s7, s17, s7
	s_load_dwordx2 s[6:7], s[6:7], 0x0
	s_mov_b32 s14, 0x4444445
	v_mul_hi_u32 v5, v0, s14
	v_lshlrev_b64 v[1:2], 3, v[1:2]
	s_waitcnt lgkmcnt(0)
	v_mul_lo_u32 v6, s7, v84
	v_mul_lo_u32 v7, s6, v85
	v_mad_u64_u32 v[3:4], s[6:7], s6, v84, 0
	v_mul_u32_u24_e32 v5, 60, v5
	v_sub_u32_e32 v80, v0, v5
	v_add3_u32 v4, v4, v7, v6
	v_lshlrev_b64 v[3:4], 3, v[3:4]
	v_mov_b32_e32 v0, s9
	v_add_co_u32_e32 v3, vcc, s8, v3
	v_addc_co_u32_e32 v0, vcc, v0, v4, vcc
	v_add_co_u32_e32 v1, vcc, v3, v1
	v_addc_co_u32_e32 v0, vcc, v0, v2, vcc
	v_lshlrev_b32_e32 v81, 3, v80
	v_add_co_u32_e32 v2, vcc, v1, v81
	v_addc_co_u32_e32 v3, vcc, 0, v0, vcc
	s_movk_i32 s6, 0x1000
	v_add_co_u32_e32 v12, vcc, s6, v2
	v_addc_co_u32_e32 v13, vcc, 0, v3, vcc
	v_or_b32_e32 v30, 0x1e00, v81
	v_add_co_u32_e32 v30, vcc, v1, v30
	global_load_dwordx2 v[4:5], v[2:3], off offset:1920
	global_load_dwordx2 v[6:7], v[2:3], off offset:2400
	;; [unrolled: 1-line block ×4, first 2 shown]
	s_movk_i32 s6, 0x2000
	v_addc_co_u32_e32 v31, vcc, 0, v0, vcc
	v_add_co_u32_e32 v32, vcc, s6, v2
	v_addc_co_u32_e32 v33, vcc, 0, v3, vcc
	s_movk_i32 s6, 0x3000
	global_load_dwordx2 v[14:15], v[2:3], off offset:3840
	global_load_dwordx2 v[16:17], v[12:13], off offset:224
	;; [unrolled: 1-line block ×10, first 2 shown]
	global_load_dwordx2 v[38:39], v[30:31], off
	global_load_dwordx2 v[40:41], v[12:13], off offset:4064
	global_load_dwordx2 v[42:43], v[32:33], off offset:1408
	;; [unrolled: 1-line block ×5, first 2 shown]
	v_add_co_u32_e32 v12, vcc, s6, v2
	v_addc_co_u32_e32 v13, vcc, 0, v3, vcc
	global_load_dwordx2 v[30:31], v[32:33], off offset:3328
	global_load_dwordx2 v[50:51], v[32:33], off offset:3808
	;; [unrolled: 1-line block ×8, first 2 shown]
	global_load_dwordx2 v[64:65], v[2:3], off
	global_load_dwordx2 v[66:67], v[2:3], off offset:480
	global_load_dwordx2 v[68:69], v[2:3], off offset:960
	;; [unrolled: 1-line block ×3, first 2 shown]
	v_or_b32_e32 v32, 0x3c00, v81
	v_add_co_u32_e32 v32, vcc, v1, v32
	v_addc_co_u32_e32 v33, vcc, 0, v0, vcc
	v_add_co_u32_e32 v2, vcc, 0x4000, v2
	v_addc_co_u32_e32 v3, vcc, 0, v3, vcc
	global_load_dwordx2 v[72:73], v[12:13], off offset:3552
	global_load_dwordx2 v[74:75], v[32:33], off
	global_load_dwordx2 v[76:77], v[2:3], off offset:416
	global_load_dwordx2 v[78:79], v[12:13], off offset:4032
	v_add_u32_e32 v2, 0, v81
	v_add_u32_e32 v3, 0x400, v2
	;; [unrolled: 1-line block ×3, first 2 shown]
	v_cmp_eq_u32_e32 vcc, 59, v80
	s_waitcnt vmcnt(34)
	ds_write2_b64 v3, v[4:5], v[6:7] offset0:112 offset1:172
	s_waitcnt vmcnt(32)
	ds_write2_b64 v12, v[8:9], v[10:11] offset0:104 offset1:164
	v_add_u32_e32 v3, 0xc00, v2
	s_waitcnt vmcnt(30)
	ds_write2_b64 v3, v[14:15], v[16:17] offset0:96 offset1:156
	v_add_u32_e32 v3, 0x1000, v2
	;; [unrolled: 3-line block ×4, first 2 shown]
	s_waitcnt vmcnt(24)
	ds_write2_b64 v3, v[26:27], v[28:29] offset0:72 offset1:132
	s_waitcnt vmcnt(20)
	ds_write2_b64 v3, v[38:39], v[40:41] offset0:192 offset1:252
	v_add_u32_e32 v3, 0x2000, v2
	ds_write2_b64 v3, v[34:35], v[36:37] offset0:56 offset1:116
	s_waitcnt vmcnt(18)
	ds_write2_b64 v3, v[42:43], v[44:45] offset0:176 offset1:236
	v_add_u32_e32 v3, 0x2800, v2
	s_waitcnt vmcnt(16)
	ds_write2_b64 v3, v[46:47], v[48:49] offset0:40 offset1:100
	s_waitcnt vmcnt(14)
	ds_write2_b64 v3, v[30:31], v[50:51] offset0:160 offset1:220
	v_add_u32_e32 v3, 0x3000, v2
	s_waitcnt vmcnt(12)
	ds_write2_b64 v3, v[52:53], v[54:55] offset0:24 offset1:84
	s_waitcnt vmcnt(10)
	ds_write2_b64 v3, v[56:57], v[58:59] offset0:144 offset1:204
	s_waitcnt vmcnt(6)
	ds_write2_b64 v2, v[64:65], v[66:67] offset1:60
	s_waitcnt vmcnt(4)
	ds_write2_b64 v2, v[68:69], v[70:71] offset0:120 offset1:180
	v_add_u32_e32 v3, 0x3800, v2
	v_add_u32_e32 v2, 0x3c00, v2
	ds_write2_b64 v3, v[60:61], v[62:63] offset0:8 offset1:68
	s_waitcnt vmcnt(2)
	ds_write2_b64 v3, v[74:75], v[72:73] offset0:128 offset1:188
	s_waitcnt vmcnt(0)
	ds_write2_b64 v2, v[78:79], v[76:77] offset0:120 offset1:180
	s_and_saveexec_b64 s[6:7], vcc
	s_cbranch_execz .LBB0_14
; %bb.13:
	v_add_co_u32_e32 v1, vcc, 0x4000, v1
	v_addc_co_u32_e32 v2, vcc, 0, v0, vcc
	global_load_dwordx2 v[0:1], v[1:2], off offset:896
	v_mov_b32_e32 v2, 0
	v_mov_b32_e32 v80, 59
	s_waitcnt vmcnt(0)
	ds_write_b64 v2, v[0:1] offset:17280
.LBB0_14:
	s_or_b64 exec, exec, s[6:7]
.LBB0_15:
	s_or_b64 exec, exec, s[4:5]
	v_lshlrev_b32_e32 v0, 3, v80
	v_add_u32_e32 v86, 0, v0
	s_waitcnt lgkmcnt(0)
	; wave barrier
	s_waitcnt lgkmcnt(0)
	v_sub_u32_e32 v4, 0, v0
	ds_read_b32 v5, v86
	ds_read_b32 v6, v4 offset:17280
	s_add_u32 s7, s12, 0x4330
	s_addc_u32 s8, s13, 0
	v_cmp_ne_u32_e32 vcc, 0, v80
                                        ; implicit-def: $vgpr2_vgpr3
	s_waitcnt lgkmcnt(0)
	v_add_f32_e32 v0, v6, v5
	v_sub_f32_e32 v1, v5, v6
	s_and_saveexec_b64 s[4:5], vcc
	s_xor_b64 s[4:5], exec, s[4:5]
	s_cbranch_execz .LBB0_17
; %bb.16:
	v_mov_b32_e32 v81, 0
	v_lshlrev_b64 v[0:1], 3, v[80:81]
	v_mov_b32_e32 v2, s8
	v_add_co_u32_e32 v0, vcc, s7, v0
	v_addc_co_u32_e32 v1, vcc, v2, v1, vcc
	global_load_dwordx2 v[2:3], v[0:1], off
	ds_read_b32 v0, v4 offset:17284
	ds_read_b32 v1, v86 offset:4
	v_add_f32_e32 v7, v6, v5
	v_sub_f32_e32 v8, v5, v6
	s_waitcnt lgkmcnt(0)
	v_add_f32_e32 v9, v0, v1
	v_sub_f32_e32 v0, v1, v0
	s_waitcnt vmcnt(0)
	v_fma_f32 v10, v8, v3, v7
	v_fma_f32 v1, v9, v3, v0
	v_fma_f32 v5, -v8, v3, v7
	v_fma_f32 v6, v9, v3, -v0
	v_fma_f32 v0, -v2, v9, v10
	v_fmac_f32_e32 v1, v8, v2
	v_fmac_f32_e32 v5, v2, v9
	;; [unrolled: 1-line block ×3, first 2 shown]
	v_mov_b32_e32 v2, v80
	ds_write_b64 v4, v[5:6] offset:17280
	v_mov_b32_e32 v3, v81
.LBB0_17:
	s_andn2_saveexec_b64 s[4:5], s[4:5]
	s_cbranch_execz .LBB0_19
; %bb.18:
	v_mov_b32_e32 v7, 0
	ds_read_b64 v[2:3], v7 offset:8640
	s_waitcnt lgkmcnt(0)
	v_add_f32_e32 v5, v2, v2
	v_mul_f32_e32 v6, -2.0, v3
	v_mov_b32_e32 v2, 0
	v_mov_b32_e32 v3, 0
	ds_write_b64 v7, v[5:6] offset:8640
.LBB0_19:
	s_or_b64 exec, exec, s[4:5]
	v_lshlrev_b64 v[2:3], 3, v[2:3]
	v_mov_b32_e32 v5, s8
	v_add_co_u32_e32 v2, vcc, s7, v2
	v_addc_co_u32_e32 v3, vcc, v5, v3, vcc
	global_load_dwordx2 v[5:6], v[2:3], off offset:480
	global_load_dwordx2 v[7:8], v[2:3], off offset:960
	;; [unrolled: 1-line block ×4, first 2 shown]
	ds_write_b64 v86, v[0:1]
	ds_read_b64 v[0:1], v86 offset:480
	ds_read_b64 v[13:14], v4 offset:16800
	global_load_dwordx2 v[15:16], v[2:3], off offset:2400
	s_movk_i32 s6, 0x1000
	v_add_u32_e32 v89, 0x800, v86
	v_add_u32_e32 v81, 0x1800, v86
	s_waitcnt lgkmcnt(0)
	v_add_f32_e32 v17, v0, v13
	v_add_f32_e32 v18, v14, v1
	v_sub_f32_e32 v19, v0, v13
	v_sub_f32_e32 v0, v1, v14
	v_add_u32_e32 v87, 0x2800, v86
	v_add_u32_e32 v88, 0x3000, v86
	;; [unrolled: 1-line block ×6, first 2 shown]
	v_mul_u32_u24_e32 v116, 10, v80
	v_lshl_add_u32 v116, v116, 3, 0
	v_add_u32_e32 v117, 0x12d0, v116
	s_waitcnt vmcnt(4)
	v_fma_f32 v20, v19, v6, v17
	v_fma_f32 v1, v18, v6, v0
	v_fma_f32 v13, -v19, v6, v17
	v_fma_f32 v14, v18, v6, -v0
	v_fma_f32 v0, -v5, v18, v20
	v_fmac_f32_e32 v1, v19, v5
	v_fmac_f32_e32 v13, v5, v18
	;; [unrolled: 1-line block ×3, first 2 shown]
	ds_write_b64 v86, v[0:1] offset:480
	ds_write_b64 v4, v[13:14] offset:16800
	ds_read_b64 v[0:1], v86 offset:960
	ds_read_b64 v[5:6], v4 offset:16320
	global_load_dwordx2 v[13:14], v[2:3], off offset:2880
	s_waitcnt lgkmcnt(0)
	v_add_f32_e32 v17, v0, v5
	v_add_f32_e32 v18, v6, v1
	v_sub_f32_e32 v19, v0, v5
	v_sub_f32_e32 v0, v1, v6
	s_waitcnt vmcnt(4)
	v_fma_f32 v20, v19, v8, v17
	v_fma_f32 v1, v18, v8, v0
	v_fma_f32 v5, -v19, v8, v17
	v_fma_f32 v6, v18, v8, -v0
	v_fma_f32 v0, -v7, v18, v20
	v_fmac_f32_e32 v1, v19, v7
	v_fmac_f32_e32 v5, v7, v18
	;; [unrolled: 1-line block ×3, first 2 shown]
	ds_write_b64 v86, v[0:1] offset:960
	ds_write_b64 v4, v[5:6] offset:16320
	ds_read_b64 v[0:1], v86 offset:1440
	ds_read_b64 v[5:6], v4 offset:15840
	global_load_dwordx2 v[7:8], v[2:3], off offset:3360
	s_waitcnt lgkmcnt(0)
	v_add_f32_e32 v17, v0, v5
	v_add_f32_e32 v18, v6, v1
	v_sub_f32_e32 v19, v0, v5
	v_sub_f32_e32 v0, v1, v6
	s_waitcnt vmcnt(4)
	v_fma_f32 v20, v19, v10, v17
	v_fma_f32 v1, v18, v10, v0
	v_fma_f32 v5, -v19, v10, v17
	v_fma_f32 v6, v18, v10, -v0
	v_fma_f32 v0, -v9, v18, v20
	v_fmac_f32_e32 v1, v19, v9
	v_fmac_f32_e32 v5, v9, v18
	;; [unrolled: 1-line block ×3, first 2 shown]
	ds_write_b64 v86, v[0:1] offset:1440
	ds_write_b64 v4, v[5:6] offset:15840
	ds_read_b64 v[0:1], v86 offset:1920
	ds_read_b64 v[5:6], v4 offset:15360
	global_load_dwordx2 v[9:10], v[2:3], off offset:3840
	v_add_co_u32_e32 v2, vcc, s6, v2
	v_addc_co_u32_e32 v3, vcc, 0, v3, vcc
	s_waitcnt lgkmcnt(0)
	v_add_f32_e32 v17, v0, v5
	v_add_f32_e32 v18, v6, v1
	v_sub_f32_e32 v19, v0, v5
	v_sub_f32_e32 v0, v1, v6
	s_waitcnt vmcnt(4)
	v_fma_f32 v20, v19, v12, v17
	v_fma_f32 v1, v18, v12, v0
	v_fma_f32 v5, -v19, v12, v17
	v_fma_f32 v6, v18, v12, -v0
	v_fma_f32 v0, -v11, v18, v20
	v_fmac_f32_e32 v1, v19, v11
	v_fmac_f32_e32 v5, v11, v18
	v_fmac_f32_e32 v6, v19, v11
	ds_write_b64 v86, v[0:1] offset:1920
	ds_write_b64 v4, v[5:6] offset:15360
	ds_read_b64 v[0:1], v86 offset:2400
	ds_read_b64 v[5:6], v4 offset:14880
	global_load_dwordx2 v[11:12], v[2:3], off offset:224
	s_waitcnt lgkmcnt(0)
	v_add_f32_e32 v17, v0, v5
	v_add_f32_e32 v18, v6, v1
	v_sub_f32_e32 v19, v0, v5
	v_sub_f32_e32 v0, v1, v6
	s_waitcnt vmcnt(4)
	v_fma_f32 v20, v19, v16, v17
	v_fma_f32 v1, v18, v16, v0
	v_fma_f32 v5, -v19, v16, v17
	v_fma_f32 v6, v18, v16, -v0
	v_fma_f32 v0, -v15, v18, v20
	v_fmac_f32_e32 v1, v19, v15
	v_fmac_f32_e32 v5, v15, v18
	v_fmac_f32_e32 v6, v19, v15
	ds_write_b64 v86, v[0:1] offset:2400
	ds_write_b64 v4, v[5:6] offset:14880
	ds_read_b64 v[0:1], v86 offset:2880
	ds_read_b64 v[5:6], v4 offset:14400
	global_load_dwordx2 v[15:16], v[2:3], off offset:704
	;; [unrolled: 19-line block ×4, first 2 shown]
	s_waitcnt lgkmcnt(0)
	v_add_f32_e32 v17, v0, v5
	v_add_f32_e32 v18, v6, v1
	v_sub_f32_e32 v19, v0, v5
	v_sub_f32_e32 v0, v1, v6
	s_waitcnt vmcnt(4)
	v_fma_f32 v20, v19, v10, v17
	v_fma_f32 v1, v18, v10, v0
	v_fma_f32 v5, -v19, v10, v17
	v_fma_f32 v6, v18, v10, -v0
	v_fma_f32 v0, -v9, v18, v20
	v_fmac_f32_e32 v1, v19, v9
	v_fmac_f32_e32 v5, v9, v18
	;; [unrolled: 1-line block ×3, first 2 shown]
	ds_write_b64 v86, v[0:1] offset:3840
	ds_write_b64 v4, v[5:6] offset:13440
	ds_read_b64 v[0:1], v86 offset:4320
	ds_read_b64 v[5:6], v4 offset:12960
	s_waitcnt lgkmcnt(0)
	v_add_f32_e32 v9, v0, v5
	v_add_f32_e32 v10, v6, v1
	v_sub_f32_e32 v5, v0, v5
	v_sub_f32_e32 v6, v1, v6
	s_waitcnt vmcnt(3)
	v_fma_f32 v0, v5, v12, v9
	v_fma_f32 v1, v10, v12, v6
	v_fma_f32 v0, -v11, v10, v0
	v_fmac_f32_e32 v1, v5, v11
	ds_write_b64 v86, v[0:1] offset:4320
	v_fma_f32 v0, -v5, v12, v9
	v_fma_f32 v1, v10, v12, -v6
	v_fmac_f32_e32 v0, v11, v10
	v_fmac_f32_e32 v1, v5, v11
	ds_write_b64 v4, v[0:1] offset:12960
	ds_read_b64 v[0:1], v86 offset:4800
	ds_read_b64 v[5:6], v4 offset:12480
	global_load_dwordx2 v[9:10], v[2:3], off offset:2144
	s_waitcnt lgkmcnt(0)
	v_add_f32_e32 v11, v0, v5
	v_add_f32_e32 v12, v6, v1
	v_sub_f32_e32 v5, v0, v5
	v_sub_f32_e32 v6, v1, v6
	s_waitcnt vmcnt(3)
	v_fma_f32 v0, v5, v16, v11
	v_fma_f32 v1, v12, v16, v6
	v_fma_f32 v0, -v15, v12, v0
	v_fmac_f32_e32 v1, v5, v15
	ds_write_b64 v86, v[0:1] offset:4800
	v_fma_f32 v0, -v5, v16, v11
	v_fma_f32 v1, v12, v16, -v6
	v_fmac_f32_e32 v0, v15, v12
	v_fmac_f32_e32 v1, v5, v15
	ds_write_b64 v4, v[0:1] offset:12480
	ds_read_b64 v[0:1], v86 offset:5280
	ds_read_b64 v[5:6], v4 offset:12000
	global_load_dwordx2 v[11:12], v[2:3], off offset:2624
	s_waitcnt lgkmcnt(0)
	v_add_f32_e32 v15, v0, v5
	v_add_f32_e32 v16, v6, v1
	v_sub_f32_e32 v5, v0, v5
	v_sub_f32_e32 v6, v1, v6
	s_waitcnt vmcnt(3)
	v_fma_f32 v0, v5, v14, v15
	v_fma_f32 v1, v16, v14, v6
	v_fma_f32 v0, -v13, v16, v0
	v_fmac_f32_e32 v1, v5, v13
	ds_write_b64 v86, v[0:1] offset:5280
	v_fma_f32 v0, -v5, v14, v15
	v_fma_f32 v1, v16, v14, -v6
	v_fmac_f32_e32 v0, v13, v16
	v_fmac_f32_e32 v1, v5, v13
	ds_write_b64 v4, v[0:1] offset:12000
	global_load_dwordx2 v[0:1], v[2:3], off offset:3104
	ds_read_b64 v[5:6], v86 offset:5760
	ds_read_b64 v[13:14], v4 offset:11520
	s_waitcnt lgkmcnt(0)
	v_add_f32_e32 v15, v5, v13
	v_add_f32_e32 v16, v14, v6
	v_sub_f32_e32 v17, v5, v13
	v_sub_f32_e32 v18, v6, v14
	v_or_b32_e32 v5, 0x3c0, v80
	v_mov_b32_e32 v6, 0
	v_lshlrev_b64 v[5:6], 3, v[5:6]
	v_mov_b32_e32 v14, s8
	v_add_co_u32_e32 v5, vcc, s7, v5
	v_addc_co_u32_e32 v6, vcc, v14, v6, vcc
	global_load_dwordx2 v[5:6], v[5:6], off
	s_waitcnt vmcnt(4)
	v_fma_f32 v13, v17, v8, v15
	v_fma_f32 v14, v16, v8, v18
	v_fma_f32 v13, -v7, v16, v13
	v_fmac_f32_e32 v14, v17, v7
	ds_write_b64 v86, v[13:14] offset:5760
	v_fma_f32 v13, -v17, v8, v15
	v_fma_f32 v14, v16, v8, -v18
	v_fmac_f32_e32 v13, v7, v16
	v_fmac_f32_e32 v14, v17, v7
	ds_write_b64 v4, v[13:14] offset:11520
	ds_read_b64 v[7:8], v86 offset:6240
	ds_read_b64 v[13:14], v4 offset:11040
	global_load_dwordx2 v[2:3], v[2:3], off offset:4064
	v_cmp_gt_u32_e32 vcc, 36, v80
	s_waitcnt lgkmcnt(0)
	v_add_f32_e32 v15, v7, v13
	v_add_f32_e32 v16, v14, v8
	v_sub_f32_e32 v13, v7, v13
	v_sub_f32_e32 v14, v8, v14
	s_waitcnt vmcnt(4)
	v_fma_f32 v7, v13, v10, v15
	v_fma_f32 v8, v16, v10, v14
	v_fma_f32 v7, -v9, v16, v7
	v_fmac_f32_e32 v8, v13, v9
	ds_write_b64 v86, v[7:8] offset:6240
	v_fma_f32 v7, -v13, v10, v15
	v_fma_f32 v8, v16, v10, -v14
	v_fmac_f32_e32 v7, v9, v16
	v_fmac_f32_e32 v8, v13, v9
	ds_write_b64 v4, v[7:8] offset:11040
	ds_read_b64 v[7:8], v86 offset:6720
	ds_read_b64 v[9:10], v4 offset:10560
	s_waitcnt lgkmcnt(0)
	v_add_f32_e32 v13, v7, v9
	v_add_f32_e32 v14, v10, v8
	v_sub_f32_e32 v9, v7, v9
	v_sub_f32_e32 v10, v8, v10
	s_waitcnt vmcnt(3)
	v_fma_f32 v7, v9, v12, v13
	v_fma_f32 v8, v14, v12, v10
	v_fma_f32 v7, -v11, v14, v7
	v_fmac_f32_e32 v8, v9, v11
	ds_write_b64 v86, v[7:8] offset:6720
	v_fma_f32 v7, -v9, v12, v13
	v_fma_f32 v8, v14, v12, -v10
	v_fmac_f32_e32 v7, v11, v14
	v_fmac_f32_e32 v8, v9, v11
	ds_write_b64 v4, v[7:8] offset:10560
	ds_read_b64 v[7:8], v86 offset:7200
	ds_read_b64 v[9:10], v4 offset:10080
	;; [unrolled: 18-line block ×4, first 2 shown]
	s_waitcnt lgkmcnt(0)
	v_add_f32_e32 v7, v0, v5
	v_add_f32_e32 v8, v6, v1
	v_sub_f32_e32 v5, v0, v5
	v_sub_f32_e32 v6, v1, v6
	s_waitcnt vmcnt(0)
	v_fma_f32 v0, v5, v3, v7
	v_fma_f32 v1, v8, v3, v6
	v_fma_f32 v0, -v2, v8, v0
	v_fmac_f32_e32 v1, v5, v2
	ds_write_b64 v86, v[0:1] offset:8160
	v_fma_f32 v0, -v5, v3, v7
	v_fma_f32 v1, v8, v3, -v6
	v_fmac_f32_e32 v0, v2, v8
	v_fmac_f32_e32 v1, v5, v2
	ds_write_b64 v4, v[0:1] offset:9120
	s_waitcnt lgkmcnt(0)
	; wave barrier
	s_waitcnt lgkmcnt(0)
	s_waitcnt lgkmcnt(0)
	; wave barrier
	s_waitcnt lgkmcnt(0)
	ds_read2_b64 v[0:3], v89 offset0:176 offset1:236
	ds_read2_b64 v[8:11], v81 offset0:96 offset1:156
	;; [unrolled: 1-line block ×4, first 2 shown]
	ds_read2_b64 v[56:59], v86 offset1:60
	s_waitcnt lgkmcnt(3)
	v_sub_f32_e32 v16, v10, v2
	s_waitcnt lgkmcnt(1)
	v_sub_f32_e32 v17, v6, v14
	v_add_f32_e32 v16, v16, v17
	v_add_f32_e32 v17, v2, v14
	s_waitcnt lgkmcnt(0)
	v_fma_f32 v94, -0.5, v17, v58
	v_sub_f32_e32 v96, v11, v7
	v_mov_b32_e32 v98, v94
	v_fmac_f32_e32 v98, 0x3f737871, v96
	v_sub_f32_e32 v97, v3, v15
	v_fmac_f32_e32 v94, 0xbf737871, v96
	v_fmac_f32_e32 v98, 0xbf167918, v97
	;; [unrolled: 1-line block ×5, first 2 shown]
	v_add_f32_e32 v16, v11, v7
	v_fma_f32 v95, -0.5, v16, v59
	v_add_f32_e32 v16, v3, v15
	v_add_f32_e32 v103, v59, v3
	v_fmac_f32_e32 v59, -0.5, v16
	v_sub_f32_e32 v16, v11, v3
	v_sub_f32_e32 v17, v7, v15
	v_add_f32_e32 v16, v16, v17
	v_add_u32_e32 v17, 0x2c00, v86
	ds_read2_b64 v[60:63], v90 offset0:136 offset1:196
	ds_read2_b64 v[64:67], v92 offset0:56 offset1:116
	;; [unrolled: 1-line block ×4, first 2 shown]
	v_sub_f32_e32 v104, v10, v6
	v_mov_b32_e32 v105, v59
	ds_read2_b64 v[76:79], v93 offset0:88 offset1:148
	v_fmac_f32_e32 v105, 0xbf737871, v104
	v_sub_f32_e32 v106, v2, v14
	v_fmac_f32_e32 v59, 0x3f737871, v104
	v_fmac_f32_e32 v105, 0x3f167918, v106
	;; [unrolled: 1-line block ×5, first 2 shown]
	s_waitcnt lgkmcnt(3)
	v_sub_f32_e32 v16, v66, v62
	s_waitcnt lgkmcnt(1)
	v_sub_f32_e32 v17, v74, v70
	v_add_f32_e32 v16, v16, v17
	v_add_f32_e32 v17, v62, v70
	s_waitcnt lgkmcnt(0)
	v_fma_f32 v17, -0.5, v17, v78
	v_sub_f32_e32 v107, v67, v75
	v_mov_b32_e32 v18, v17
	v_fmac_f32_e32 v18, 0x3f737871, v107
	v_sub_f32_e32 v108, v63, v71
	v_fmac_f32_e32 v17, 0xbf737871, v107
	v_fmac_f32_e32 v18, 0xbf167918, v108
	v_fmac_f32_e32 v17, 0x3f167918, v108
	v_fmac_f32_e32 v18, 0x3e9e377a, v16
	v_fmac_f32_e32 v17, 0x3e9e377a, v16
	v_add_f32_e32 v16, v67, v75
	v_fma_f32 v109, -0.5, v16, v79
	v_add_f32_e32 v16, v63, v71
	v_add_f32_e32 v110, v79, v63
	v_fmac_f32_e32 v79, -0.5, v16
	v_sub_f32_e32 v16, v67, v63
	v_sub_f32_e32 v19, v75, v71
	v_add_f32_e32 v16, v16, v19
	v_sub_f32_e32 v111, v66, v74
	v_mov_b32_e32 v19, v79
	v_fmac_f32_e32 v19, 0xbf737871, v111
	v_sub_f32_e32 v112, v62, v70
	v_fmac_f32_e32 v79, 0x3f737871, v111
	v_fmac_f32_e32 v19, 0x3f167918, v112
	v_fmac_f32_e32 v79, 0xbf167918, v112
	v_fmac_f32_e32 v19, 0x3e9e377a, v16
	v_fmac_f32_e32 v79, 0x3e9e377a, v16
	v_mul_f32_e32 v113, 0xbf737871, v19
	v_mul_f32_e32 v114, 0x3e9e377a, v19
	;; [unrolled: 1-line block ×4, first 2 shown]
	v_fmac_f32_e32 v113, 0x3e9e377a, v18
	v_fmac_f32_e32 v114, 0x3f737871, v18
	;; [unrolled: 1-line block ×4, first 2 shown]
	v_add_f32_e32 v99, v98, v113
	v_add_f32_e32 v100, v105, v114
	;; [unrolled: 1-line block ×4, first 2 shown]
	v_add_u32_e32 v16, 0x1c00, v86
	v_add_u32_e32 v17, 0x4000, v86
	ds_read2_b64 v[24:27], v16 offset0:88 offset1:148
	ds_read2_b64 v[16:19], v17 offset0:16 offset1:76
	;; [unrolled: 1-line block ×5, first 2 shown]
	ds_read2_b64 v[28:31], v81 offset1:60
	ds_read2_b64 v[32:35], v92 offset0:176 offset1:236
	ds_read2_b64 v[48:51], v87 offset0:136 offset1:196
	;; [unrolled: 1-line block ×4, first 2 shown]
	s_waitcnt lgkmcnt(0)
	; wave barrier
	s_waitcnt lgkmcnt(0)
	ds_write2_b64 v117, v[99:100], v[101:102] offset1:1
	v_sub_f32_e32 v99, v2, v10
	v_add_f32_e32 v2, v58, v2
	v_add_f32_e32 v2, v2, v10
	v_sub_f32_e32 v100, v14, v6
	v_add_f32_e32 v2, v2, v6
	v_add_f32_e32 v99, v99, v100
	v_sub_f32_e32 v3, v3, v11
	v_sub_f32_e32 v100, v15, v7
	v_add_f32_e32 v14, v2, v14
	v_add_f32_e32 v2, v10, v6
	;; [unrolled: 1-line block ×3, first 2 shown]
	v_sub_f32_e32 v3, v62, v66
	v_sub_f32_e32 v101, v70, v74
	v_fma_f32 v10, -0.5, v2, v58
	v_add_f32_e32 v2, v103, v11
	v_add_f32_e32 v101, v3, v101
	v_sub_f32_e32 v3, v63, v67
	v_sub_f32_e32 v63, v71, v75
	v_add_f32_e32 v2, v2, v7
	v_add_f32_e32 v63, v3, v63
	;; [unrolled: 1-line block ×5, first 2 shown]
	v_fma_f32 v3, -0.5, v3, v78
	v_mov_b32_e32 v117, v109
	v_fmac_f32_e32 v109, 0xbf737871, v112
	v_add_f32_e32 v2, v2, v66
	v_mov_b32_e32 v102, v3
	v_fmac_f32_e32 v3, 0x3f737871, v108
	v_fmac_f32_e32 v109, 0xbf167918, v111
	v_add_f32_e32 v2, v2, v74
	v_fmac_f32_e32 v3, 0x3f167918, v107
	v_fmac_f32_e32 v109, 0x3e9e377a, v63
	v_mov_b32_e32 v58, v10
	v_fmac_f32_e32 v10, 0x3f737871, v97
	v_mov_b32_e32 v15, v95
	v_fmac_f32_e32 v95, 0xbf737871, v106
	v_add_f32_e32 v62, v2, v70
	v_add_f32_e32 v2, v110, v67
	v_fmac_f32_e32 v3, 0x3e9e377a, v101
	v_mul_f32_e32 v118, 0xbf167918, v109
	v_mul_f32_e32 v109, 0xbf4f1bbd, v109
	v_fmac_f32_e32 v10, 0x3f167918, v96
	v_fmac_f32_e32 v95, 0xbf167918, v104
	v_add_f32_e32 v2, v2, v75
	v_fmac_f32_e32 v102, 0xbf737871, v108
	v_fmac_f32_e32 v117, 0x3f737871, v112
	;; [unrolled: 1-line block ×6, first 2 shown]
	v_add_f32_e32 v66, v2, v71
	v_fmac_f32_e32 v102, 0xbf167918, v107
	v_fmac_f32_e32 v117, 0x3f167918, v111
	v_add_f32_e32 v2, v10, v118
	v_add_f32_e32 v3, v95, v109
	v_sub_f32_e32 v6, v14, v62
	v_sub_f32_e32 v7, v11, v66
	v_add_u32_e32 v67, 0x12e0, v116
	v_fmac_f32_e32 v58, 0xbf737871, v97
	v_fmac_f32_e32 v15, 0x3f737871, v106
	;; [unrolled: 1-line block ×4, first 2 shown]
	ds_write2_b64 v67, v[2:3], v[6:7] offset1:1
	v_fmac_f32_e32 v58, 0xbf167918, v96
	v_fmac_f32_e32 v15, 0x3f167918, v104
	v_mul_f32_e32 v63, 0xbf167918, v117
	v_mul_f32_e32 v67, 0x3f167918, v102
	v_fmac_f32_e32 v58, 0x3e9e377a, v99
	v_fmac_f32_e32 v15, 0x3e9e377a, v100
	;; [unrolled: 1-line block ×4, first 2 shown]
	v_sub_f32_e32 v2, v98, v113
	v_sub_f32_e32 v3, v105, v114
	;; [unrolled: 1-line block ×4, first 2 shown]
	v_add_u32_e32 v70, 0x12f0, v116
	ds_write2_b64 v70, v[6:7], v[2:3] offset1:1
	v_sub_f32_e32 v2, v10, v118
	v_sub_f32_e32 v3, v95, v109
	;; [unrolled: 1-line block ×4, first 2 shown]
	v_add_u32_e32 v10, 0x1300, v116
	ds_write2_b64 v10, v[6:7], v[2:3] offset1:1
	v_sub_f32_e32 v2, v44, v24
	v_sub_f32_e32 v3, v52, v48
	v_add_f32_e32 v10, v2, v3
	v_sub_f32_e32 v2, v45, v25
	v_sub_f32_e32 v3, v53, v49
	v_add_f32_e32 v59, v2, v3
	;; [unrolled: 3-line block ×4, first 2 shown]
	v_add_f32_e32 v3, v33, v41
	v_add_f32_e32 v2, v32, v40
	v_fma_f32 v79, -0.5, v3, v21
	v_fma_f32 v74, -0.5, v2, v20
	v_sub_f32_e32 v94, v28, v16
	v_mov_b32_e32 v3, v79
	v_sub_f32_e32 v75, v29, v17
	v_mov_b32_e32 v2, v74
	v_fmac_f32_e32 v3, 0x3f737871, v94
	v_sub_f32_e32 v95, v32, v40
	v_fmac_f32_e32 v2, 0xbf737871, v75
	v_sub_f32_e32 v78, v33, v41
	v_fmac_f32_e32 v3, 0x3f167918, v95
	v_fmac_f32_e32 v2, 0xbf167918, v78
	;; [unrolled: 1-line block ×4, first 2 shown]
	v_mul_f32_e32 v96, 0xbf167918, v3
	v_fmac_f32_e32 v96, 0x3f4f1bbd, v2
	v_mul_f32_e32 v97, 0x3f167918, v2
	v_add_f32_e32 v2, v36, v44
	v_add_f32_e32 v2, v2, v24
	;; [unrolled: 1-line block ×5, first 2 shown]
	v_fma_f32 v99, -0.5, v2, v36
	v_add_f32_e32 v2, v37, v45
	v_add_f32_e32 v2, v2, v25
	;; [unrolled: 1-line block ×5, first 2 shown]
	v_fma_f32 v104, -0.5, v2, v37
	v_add_f32_e32 v2, v20, v28
	v_add_f32_e32 v2, v2, v32
	;; [unrolled: 1-line block ×3, first 2 shown]
	v_sub_f32_e32 v100, v45, v53
	v_mov_b32_e32 v101, v99
	v_sub_f32_e32 v105, v44, v52
	v_mov_b32_e32 v106, v104
	v_add_f32_e32 v108, v2, v16
	v_add_f32_e32 v2, v21, v29
	v_fmac_f32_e32 v101, 0xbf737871, v100
	v_sub_f32_e32 v102, v25, v49
	v_fmac_f32_e32 v106, 0x3f737871, v105
	v_sub_f32_e32 v107, v24, v48
	v_add_f32_e32 v2, v2, v33
	v_fmac_f32_e32 v101, 0xbf167918, v102
	v_fmac_f32_e32 v106, 0x3f167918, v107
	v_add_f32_e32 v2, v2, v41
	v_fmac_f32_e32 v97, 0x3f4f1bbd, v3
	v_fmac_f32_e32 v101, 0x3e9e377a, v10
	;; [unrolled: 1-line block ×3, first 2 shown]
	v_add_f32_e32 v109, v2, v17
	v_add_f32_e32 v2, v98, v108
	;; [unrolled: 1-line block ×5, first 2 shown]
	v_add_u32_e32 v110, 0x2580, v116
	ds_write2_b64 v110, v[2:3], v[6:7] offset1:1
	v_sub_f32_e32 v2, v24, v44
	v_sub_f32_e32 v3, v48, v52
	v_add_f32_e32 v2, v2, v3
	v_add_f32_e32 v3, v44, v52
	v_fma_f32 v24, -0.5, v3, v36
	v_mov_b32_e32 v36, v24
	v_fmac_f32_e32 v36, 0x3f737871, v102
	v_fmac_f32_e32 v24, 0xbf737871, v102
	v_fmac_f32_e32 v36, 0xbf167918, v100
	v_fmac_f32_e32 v24, 0x3f167918, v100
	v_fmac_f32_e32 v36, 0x3e9e377a, v2
	v_fmac_f32_e32 v24, 0x3e9e377a, v2
	v_sub_f32_e32 v2, v25, v45
	v_sub_f32_e32 v3, v49, v53
	v_add_f32_e32 v2, v2, v3
	v_add_f32_e32 v3, v45, v53
	v_fma_f32 v25, -0.5, v3, v37
	v_mov_b32_e32 v37, v25
	v_fmac_f32_e32 v37, 0xbf737871, v107
	v_fmac_f32_e32 v25, 0x3f737871, v107
	v_fmac_f32_e32 v37, 0x3f167918, v105
	v_fmac_f32_e32 v25, 0xbf167918, v105
	v_fmac_f32_e32 v37, 0x3e9e377a, v2
	v_fmac_f32_e32 v25, 0x3e9e377a, v2
	;; [unrolled: 12-line block ×4, first 2 shown]
	v_mul_f32_e32 v17, 0xbf737871, v16
	v_mul_f32_e32 v16, 0x3e9e377a, v16
	;; [unrolled: 1-line block ×4, first 2 shown]
	v_fmac_f32_e32 v79, 0xbf737871, v94
	v_fmac_f32_e32 v17, 0x3e9e377a, v6
	v_fmac_f32_e32 v16, 0x3f737871, v6
	v_fmac_f32_e32 v20, 0xbe9e377a, v3
	v_fmac_f32_e32 v21, 0x3f737871, v3
	v_fmac_f32_e32 v99, 0x3f737871, v100
	v_fmac_f32_e32 v74, 0x3f737871, v75
	v_fmac_f32_e32 v79, 0xbf167918, v95
	v_add_f32_e32 v2, v36, v17
	v_add_f32_e32 v3, v37, v16
	;; [unrolled: 1-line block ×4, first 2 shown]
	v_add_u32_e32 v28, 0x2590, v116
	v_fmac_f32_e32 v99, 0x3f167918, v102
	v_fmac_f32_e32 v104, 0xbf737871, v105
	v_fmac_f32_e32 v74, 0x3f167918, v78
	v_fmac_f32_e32 v79, 0x3e9e377a, v71
	ds_write2_b64 v28, v[2:3], v[6:7] offset1:1
	v_fmac_f32_e32 v99, 0x3e9e377a, v10
	v_fmac_f32_e32 v104, 0xbf167918, v107
	;; [unrolled: 1-line block ×3, first 2 shown]
	v_mul_f32_e32 v10, 0xbf167918, v79
	v_mul_f32_e32 v28, 0xbf4f1bbd, v79
	v_fmac_f32_e32 v104, 0x3e9e377a, v59
	v_fmac_f32_e32 v10, 0xbf4f1bbd, v74
	;; [unrolled: 1-line block ×3, first 2 shown]
	v_sub_f32_e32 v2, v98, v108
	v_sub_f32_e32 v3, v103, v109
	v_add_f32_e32 v6, v99, v10
	v_add_f32_e32 v7, v104, v28
	v_add_u32_e32 v29, 0x25a0, v116
	ds_write2_b64 v29, v[6:7], v[2:3] offset1:1
	v_sub_f32_e32 v2, v101, v96
	v_sub_f32_e32 v3, v106, v97
	;; [unrolled: 1-line block ×4, first 2 shown]
	v_add_u32_e32 v16, 0x25b0, v116
	ds_write2_b64 v16, v[2:3], v[6:7] offset1:1
	v_sub_f32_e32 v2, v24, v20
	v_sub_f32_e32 v3, v25, v21
	;; [unrolled: 1-line block ×4, first 2 shown]
	v_add_u32_e32 v10, 0x25c0, v116
	ds_write2_b64 v10, v[2:3], v[6:7] offset1:1
	v_add_f32_e32 v2, v56, v0
	v_add_f32_e32 v2, v2, v8
	;; [unrolled: 1-line block ×4, first 2 shown]
	v_sub_f32_e32 v7, v9, v5
	v_sub_f32_e32 v10, v0, v8
	;; [unrolled: 1-line block ×3, first 2 shown]
	v_add_f32_e32 v17, v9, v5
	v_sub_f32_e32 v20, v1, v9
	v_sub_f32_e32 v9, v9, v1
	;; [unrolled: 1-line block ×3, first 2 shown]
	v_add_f32_e32 v24, v0, v12
	v_sub_f32_e32 v25, v0, v12
	v_add_f32_e32 v0, v1, v13
	v_add_f32_e32 v1, v2, v4
	;; [unrolled: 1-line block ×3, first 2 shown]
	v_sub_f32_e32 v8, v8, v4
	v_add_f32_e32 v2, v3, v5
	v_sub_f32_e32 v3, v12, v4
	v_sub_f32_e32 v4, v4, v12
	v_add_f32_e32 v12, v1, v12
	v_fma_f32 v29, -0.5, v0, v57
	v_add_f32_e32 v0, v76, v60
	v_add_f32_e32 v1, v77, v61
	v_sub_f32_e32 v28, v13, v5
	v_sub_f32_e32 v5, v5, v13
	v_add_f32_e32 v13, v2, v13
	v_add_f32_e32 v0, v0, v64
	;; [unrolled: 1-line block ×5, first 2 shown]
	v_sub_f32_e32 v33, v60, v64
	v_sub_f32_e32 v36, v64, v60
	;; [unrolled: 1-line block ×3, first 2 shown]
	v_add_f32_e32 v0, v0, v72
	v_add_f32_e32 v1, v1, v73
	v_fma_f32 v64, -0.5, v2, v76
	v_fma_f32 v37, -0.5, v37, v77
	v_sub_f32_e32 v41, v61, v65
	v_sub_f32_e32 v44, v65, v61
	;; [unrolled: 1-line block ×3, first 2 shown]
	v_add_f32_e32 v48, v60, v68
	v_sub_f32_e32 v49, v60, v68
	v_add_f32_e32 v52, v61, v69
	v_add_f32_e32 v60, v0, v68
	;; [unrolled: 1-line block ×3, first 2 shown]
	v_mov_b32_e32 v0, v64
	v_mov_b32_e32 v1, v37
	v_fma_f32 v6, -0.5, v6, v56
	v_fma_f32 v17, -0.5, v17, v57
	v_sub_f32_e32 v32, v65, v73
	v_sub_f32_e32 v53, v68, v72
	;; [unrolled: 1-line block ×3, first 2 shown]
	v_fmac_f32_e32 v0, 0xbf737871, v45
	v_fmac_f32_e32 v1, 0x3f737871, v49
	v_add_f32_e32 v20, v20, v28
	v_add_f32_e32 v28, v33, v53
	;; [unrolled: 1-line block ×3, first 2 shown]
	v_fmac_f32_e32 v0, 0xbf167918, v32
	v_fmac_f32_e32 v1, 0x3f167918, v40
	v_mov_b32_e32 v57, v6
	v_mov_b32_e32 v65, v17
	v_fmac_f32_e32 v0, 0x3e9e377a, v28
	v_fmac_f32_e32 v1, 0x3e9e377a, v33
	;; [unrolled: 1-line block ×4, first 2 shown]
	v_add_f32_e32 v10, v10, v3
	v_mul_f32_e32 v41, 0xbf167918, v1
	v_mul_f32_e32 v53, 0x3f167918, v0
	v_fmac_f32_e32 v57, 0xbf167918, v7
	v_fmac_f32_e32 v65, 0x3f167918, v8
	;; [unrolled: 1-line block ×6, first 2 shown]
	v_fma_f32 v24, -0.5, v24, v56
	v_add_f32_e32 v0, v12, v60
	v_add_f32_e32 v1, v13, v61
	;; [unrolled: 1-line block ×4, first 2 shown]
	ds_write2_b64 v116, v[0:1], v[2:3] offset1:1
	v_add_f32_e32 v0, v16, v4
	v_mov_b32_e32 v4, v24
	v_fmac_f32_e32 v4, 0x3f737871, v7
	v_fmac_f32_e32 v24, 0xbf737871, v7
	;; [unrolled: 1-line block ×4, first 2 shown]
	v_fma_f32 v48, -0.5, v48, v76
	v_fmac_f32_e32 v4, 0x3e9e377a, v0
	v_fmac_f32_e32 v24, 0x3e9e377a, v0
	v_add_f32_e32 v0, v9, v5
	v_mov_b32_e32 v5, v29
	v_fma_f32 v52, -0.5, v52, v77
	v_fmac_f32_e32 v5, 0xbf737871, v8
	v_fmac_f32_e32 v29, 0x3f737871, v8
	v_mov_b32_e32 v1, v48
	v_sub_f32_e32 v56, v72, v68
	v_fmac_f32_e32 v5, 0x3f167918, v25
	v_fmac_f32_e32 v29, 0xbf167918, v25
	;; [unrolled: 1-line block ×4, first 2 shown]
	v_mov_b32_e32 v2, v52
	v_sub_f32_e32 v59, v73, v69
	v_fmac_f32_e32 v5, 0x3e9e377a, v0
	v_fmac_f32_e32 v29, 0x3e9e377a, v0
	v_add_f32_e32 v0, v36, v56
	v_fmac_f32_e32 v1, 0xbf167918, v45
	v_fmac_f32_e32 v48, 0x3f167918, v45
	;; [unrolled: 1-line block ×6, first 2 shown]
	v_add_f32_e32 v0, v44, v59
	v_fmac_f32_e32 v2, 0x3f167918, v49
	v_fmac_f32_e32 v52, 0xbf167918, v49
	;; [unrolled: 1-line block ×7, first 2 shown]
	v_mul_f32_e32 v9, 0xbf737871, v2
	v_mul_f32_e32 v16, 0x3e9e377a, v2
	;; [unrolled: 1-line block ×4, first 2 shown]
	v_fmac_f32_e32 v6, 0x3f737871, v21
	v_fmac_f32_e32 v17, 0xbf737871, v25
	v_fmac_f32_e32 v64, 0x3f167918, v32
	v_fmac_f32_e32 v37, 0x3e9e377a, v33
	v_fmac_f32_e32 v9, 0x3e9e377a, v1
	v_fmac_f32_e32 v16, 0x3f737871, v1
	v_fmac_f32_e32 v36, 0xbe9e377a, v48
	v_fmac_f32_e32 v44, 0x3f737871, v48
	v_fmac_f32_e32 v6, 0x3f167918, v7
	v_fmac_f32_e32 v17, 0xbf167918, v8
	v_fmac_f32_e32 v64, 0x3e9e377a, v28
	v_mul_f32_e32 v7, 0xbf167918, v37
	v_mul_f32_e32 v8, 0xbf4f1bbd, v37
	v_add_f32_e32 v0, v4, v9
	v_add_f32_e32 v1, v5, v16
	;; [unrolled: 1-line block ×4, first 2 shown]
	v_fmac_f32_e32 v6, 0x3e9e377a, v10
	v_fmac_f32_e32 v17, 0x3e9e377a, v20
	;; [unrolled: 1-line block ×4, first 2 shown]
	ds_write2_b64 v116, v[0:1], v[2:3] offset0:2 offset1:3
	v_sub_f32_e32 v0, v12, v60
	v_sub_f32_e32 v1, v13, v61
	v_add_f32_e32 v2, v6, v7
	v_add_f32_e32 v3, v17, v8
	ds_write2_b64 v116, v[2:3], v[0:1] offset0:4 offset1:5
	v_sub_f32_e32 v0, v57, v41
	v_sub_f32_e32 v1, v65, v53
	;; [unrolled: 1-line block ×4, first 2 shown]
	ds_write2_b64 v116, v[0:1], v[2:3] offset0:6 offset1:7
	v_sub_f32_e32 v0, v24, v36
	v_sub_f32_e32 v1, v29, v44
	;; [unrolled: 1-line block ×4, first 2 shown]
	ds_write2_b64 v116, v[0:1], v[2:3] offset0:8 offset1:9
	v_add_f32_e32 v1, v14, v62
	v_add_f32_e32 v2, v11, v66
	;; [unrolled: 1-line block ×4, first 2 shown]
	v_add_u32_e32 v0, 0x12c0, v116
	ds_write2_b64 v0, v[1:2], v[3:4] offset1:1
	s_and_saveexec_b64 s[4:5], vcc
	s_cbranch_execz .LBB0_21
; %bb.20:
	v_sub_f32_e32 v1, v47, v27
	v_sub_f32_e32 v2, v55, v51
	v_add_f32_e32 v1, v1, v2
	v_add_f32_e32 v2, v27, v51
	v_fma_f32 v11, -0.5, v2, v39
	v_sub_f32_e32 v2, v30, v34
	v_sub_f32_e32 v4, v18, v42
	v_add_f32_e32 v7, v2, v4
	v_add_f32_e32 v2, v34, v42
	v_fma_f32 v9, -0.5, v2, v22
	v_sub_f32_e32 v2, v31, v35
	v_sub_f32_e32 v4, v19, v43
	v_add_f32_e32 v14, v2, v4
	v_sub_f32_e32 v4, v27, v47
	v_sub_f32_e32 v6, v51, v55
	v_add_f32_e32 v6, v4, v6
	v_add_f32_e32 v4, v47, v55
	v_fma_f32 v24, -0.5, v4, v39
	v_sub_f32_e32 v4, v34, v30
	v_sub_f32_e32 v28, v42, v18
	v_add_f32_e32 v28, v4, v28
	v_add_f32_e32 v4, v30, v18
	v_sub_f32_e32 v3, v46, v54
	v_mov_b32_e32 v12, v11
	v_fma_f32 v29, -0.5, v4, v22
	v_sub_f32_e32 v4, v35, v31
	v_sub_f32_e32 v33, v43, v19
	v_fmac_f32_e32 v12, 0xbf737871, v3
	v_sub_f32_e32 v5, v26, v50
	v_add_f32_e32 v33, v4, v33
	v_add_f32_e32 v4, v31, v19
	v_fmac_f32_e32 v11, 0x3f737871, v3
	v_fmac_f32_e32 v12, 0xbf167918, v5
	v_add_f32_e32 v2, v35, v43
	v_fma_f32 v36, -0.5, v4, v23
	v_fmac_f32_e32 v11, 0x3f167918, v5
	v_fmac_f32_e32 v12, 0x3e9e377a, v1
	v_fma_f32 v15, -0.5, v2, v23
	v_sub_f32_e32 v20, v34, v42
	v_mov_b32_e32 v37, v36
	v_fmac_f32_e32 v11, 0x3e9e377a, v1
	v_add_f32_e32 v1, v39, v47
	v_sub_f32_e32 v10, v35, v43
	v_sub_f32_e32 v16, v30, v18
	v_mov_b32_e32 v17, v15
	v_mov_b32_e32 v32, v29
	v_fmac_f32_e32 v37, 0x3f737871, v20
	v_add_f32_e32 v1, v1, v27
	v_sub_f32_e32 v8, v31, v19
	v_fmac_f32_e32 v17, 0xbf737871, v16
	v_fmac_f32_e32 v32, 0xbf737871, v10
	;; [unrolled: 1-line block ×5, first 2 shown]
	v_add_f32_e32 v1, v1, v51
	v_fmac_f32_e32 v17, 0xbf167918, v20
	v_fmac_f32_e32 v32, 0x3f167918, v8
	;; [unrolled: 1-line block ×6, first 2 shown]
	v_add_f32_e32 v20, v1, v55
	v_add_f32_e32 v1, v23, v31
	v_mov_b32_e32 v13, v9
	v_fmac_f32_e32 v32, 0x3e9e377a, v28
	v_mul_f32_e32 v40, 0xbe9e377a, v37
	v_fmac_f32_e32 v29, 0xbf167918, v8
	v_fmac_f32_e32 v36, 0x3e9e377a, v33
	;; [unrolled: 1-line block ×3, first 2 shown]
	v_add_f32_e32 v1, v1, v35
	v_mul_f32_e32 v35, 0xbf737871, v37
	v_mov_b32_e32 v25, v24
	v_fmac_f32_e32 v40, 0x3f737871, v32
	v_fmac_f32_e32 v29, 0x3e9e377a, v28
	v_mul_f32_e32 v28, 0x3e9e377a, v36
	v_fmac_f32_e32 v9, 0xbf167918, v10
	v_fmac_f32_e32 v15, 0x3e9e377a, v14
	;; [unrolled: 1-line block ×3, first 2 shown]
	v_mul_f32_e32 v32, 0xbf737871, v36
	v_fmac_f32_e32 v13, 0x3f737871, v8
	v_fmac_f32_e32 v25, 0x3f737871, v5
	;; [unrolled: 1-line block ×5, first 2 shown]
	v_add_f32_e32 v1, v1, v43
	v_fmac_f32_e32 v32, 0x3e9e377a, v29
	v_mul_f32_e32 v29, 0xbf167918, v15
	v_fmac_f32_e32 v13, 0x3f167918, v10
	v_fmac_f32_e32 v25, 0xbf167918, v3
	;; [unrolled: 1-line block ×3, first 2 shown]
	v_mul_f32_e32 v33, 0x3f167918, v9
	v_add_f32_e32 v19, v1, v19
	v_sub_f32_e32 v1, v46, v26
	v_sub_f32_e32 v3, v54, v50
	v_fmac_f32_e32 v29, 0x3f4f1bbd, v9
	v_add_f32_e32 v9, v38, v46
	v_fmac_f32_e32 v13, 0x3e9e377a, v7
	v_add_f32_e32 v7, v1, v3
	v_add_f32_e32 v1, v26, v50
	v_sub_f32_e32 v3, v26, v46
	v_sub_f32_e32 v5, v50, v54
	v_add_f32_e32 v9, v9, v26
	v_fmac_f32_e32 v17, 0x3e9e377a, v14
	v_fma_f32 v23, -0.5, v1, v38
	v_add_f32_e32 v5, v3, v5
	v_add_f32_e32 v3, v46, v54
	;; [unrolled: 1-line block ×3, first 2 shown]
	v_mul_f32_e32 v21, 0xbf4f1bbd, v17
	v_sub_f32_e32 v14, v47, v55
	v_mov_b32_e32 v31, v23
	v_sub_f32_e32 v16, v27, v51
	v_mul_f32_e32 v17, 0xbf167918, v17
	v_fma_f32 v27, -0.5, v3, v38
	v_add_f32_e32 v26, v9, v54
	v_add_f32_e32 v9, v22, v30
	v_fmac_f32_e32 v21, 0x3f167918, v13
	v_fmac_f32_e32 v31, 0x3f737871, v14
	;; [unrolled: 1-line block ×3, first 2 shown]
	v_mov_b32_e32 v13, v27
	v_fmac_f32_e32 v23, 0xbf737871, v14
	v_add_f32_e32 v9, v9, v34
	v_fmac_f32_e32 v31, 0x3f167918, v16
	v_fmac_f32_e32 v13, 0xbf737871, v16
	v_fmac_f32_e32 v27, 0x3f737871, v16
	v_fmac_f32_e32 v23, 0xbf167918, v16
	v_add_f32_e32 v9, v9, v42
	v_fmac_f32_e32 v33, 0x3f4f1bbd, v15
	v_fmac_f32_e32 v31, 0x3e9e377a, v7
	;; [unrolled: 1-line block ×5, first 2 shown]
	v_add_f32_e32 v22, v9, v18
	v_sub_f32_e32 v2, v12, v21
	v_fmac_f32_e32 v25, 0x3e9e377a, v6
	v_fmac_f32_e32 v24, 0x3e9e377a, v6
	v_sub_f32_e32 v8, v11, v33
	v_sub_f32_e32 v10, v20, v19
	;; [unrolled: 1-line block ×3, first 2 shown]
	v_fmac_f32_e32 v13, 0x3e9e377a, v5
	v_fmac_f32_e32 v27, 0x3e9e377a, v5
	v_add_f32_e32 v12, v12, v21
	v_add_f32_e32 v18, v11, v33
	;; [unrolled: 1-line block ×6, first 2 shown]
	v_add_u32_e32 v21, 0x2580, v0
	v_sub_f32_e32 v3, v13, v35
	v_add_f32_e32 v14, v25, v40
	v_add_f32_e32 v16, v24, v28
	;; [unrolled: 1-line block ×4, first 2 shown]
	ds_write2_b64 v21, v[19:20], v[17:18] offset1:1
	v_add_u32_e32 v17, 0x2590, v0
	v_sub_f32_e32 v9, v26, v22
	ds_write2_b64 v17, v[15:16], v[13:14] offset1:1
	v_add_u32_e32 v13, 0x25a0, v0
	v_sub_f32_e32 v4, v25, v40
	v_sub_f32_e32 v6, v24, v28
	;; [unrolled: 1-line block ×4, first 2 shown]
	ds_write2_b64 v13, v[11:12], v[9:10] offset1:1
	v_add_u32_e32 v9, 0x25b0, v0
	v_add_u32_e32 v0, 0x25c0, v0
	ds_write2_b64 v9, v[7:8], v[5:6] offset1:1
	ds_write2_b64 v0, v[3:4], v[1:2] offset1:1
.LBB0_21:
	s_or_b64 exec, exec, s[4:5]
	s_movk_i32 s4, 0xcd
	v_mul_lo_u16_sdwa v0, v80, s4 dst_sel:DWORD dst_unused:UNUSED_PAD src0_sel:BYTE_0 src1_sel:DWORD
	v_lshrrev_b16_e32 v2, 11, v0
	v_mul_lo_u16_e32 v0, 10, v2
	v_sub_u16_e32 v3, v80, v0
	v_mov_b32_e32 v4, 5
	v_mul_u32_u24_sdwa v0, v3, v4 dst_sel:DWORD dst_unused:UNUSED_PAD src0_sel:BYTE_0 src1_sel:DWORD
	v_add_u32_e32 v7, 60, v80
	v_lshlrev_b32_e32 v6, 3, v0
	v_mul_lo_u16_sdwa v0, v7, s4 dst_sel:DWORD dst_unused:UNUSED_PAD src0_sel:BYTE_0 src1_sel:DWORD
	v_lshrrev_b16_e32 v9, 11, v0
	v_mul_lo_u16_e32 v0, 10, v9
	v_sub_u16_e32 v11, v7, v0
	v_mul_u32_u24_sdwa v0, v11, v4 dst_sel:DWORD dst_unused:UNUSED_PAD src0_sel:BYTE_0 src1_sel:DWORD
	s_waitcnt lgkmcnt(0)
	; wave barrier
	s_waitcnt lgkmcnt(0)
	global_load_dwordx4 v[18:21], v6, s[12:13]
	global_load_dwordx4 v[22:25], v6, s[12:13] offset:16
	v_lshlrev_b32_e32 v110, 3, v0
	global_load_dwordx4 v[26:29], v110, s[12:13]
	global_load_dwordx4 v[30:33], v110, s[12:13] offset:16
	v_add_u16_e32 v0, 0x78, v80
	v_mul_lo_u16_sdwa v1, v0, s4 dst_sel:DWORD dst_unused:UNUSED_PAD src0_sel:BYTE_0 src1_sel:DWORD
	v_lshrrev_b16_e32 v12, 11, v1
	v_mul_lo_u16_e32 v1, 10, v12
	v_sub_u16_e32 v13, v0, v1
	v_mul_u32_u24_sdwa v1, v13, v4 dst_sel:DWORD dst_unused:UNUSED_PAD src0_sel:BYTE_0 src1_sel:DWORD
	v_lshlrev_b32_e32 v111, 3, v1
	global_load_dwordx4 v[34:37], v111, s[12:13]
	v_add_u16_e32 v1, 0xb4, v80
	v_mul_lo_u16_sdwa v5, v1, s4 dst_sel:DWORD dst_unused:UNUSED_PAD src0_sel:BYTE_0 src1_sel:DWORD
	v_lshrrev_b16_e32 v14, 11, v5
	v_mul_lo_u16_e32 v5, 10, v14
	v_sub_u16_e32 v15, v1, v5
	v_mul_u32_u24_sdwa v4, v15, v4 dst_sel:DWORD dst_unused:UNUSED_PAD src0_sel:BYTE_0 src1_sel:DWORD
	v_lshlrev_b32_e32 v16, 3, v4
	global_load_dwordx4 v[38:41], v16, s[12:13]
	ds_read2_b64 v[42:45], v86 offset1:60
	ds_read2_b64 v[46:49], v89 offset0:104 offset1:164
	ds_read2_b64 v[50:53], v92 offset0:56 offset1:116
	;; [unrolled: 1-line block ×5, first 2 shown]
	global_load_dwordx4 v[66:69], v111, s[12:13] offset:16
	v_add_u32_e32 v5, 0x1400, v86
	v_add_u32_e32 v4, 0xc00, v86
	ds_read2_b64 v[70:73], v81 offset0:72 offset1:132
	ds_read2_b64 v[74:77], v92 offset0:176 offset1:236
	;; [unrolled: 1-line block ×5, first 2 shown]
	global_load_dwordx2 v[78:79], v16, s[12:13] offset:32
	global_load_dwordx4 v[106:109], v16, s[12:13] offset:16
	v_add_u32_e32 v10, 0xf0, v80
	s_mov_b32 s4, 0xcccd
	global_load_dwordx2 v[114:115], v6, s[12:13] offset:32
	global_load_dwordx2 v[116:117], v110, s[12:13] offset:32
	;; [unrolled: 1-line block ×3, first 2 shown]
	v_mul_u32_u24_sdwa v17, v10, s4 dst_sel:DWORD dst_unused:UNUSED_PAD src0_sel:WORD_0 src1_sel:DWORD
	v_add_u32_e32 v8, 0x12c, v80
	v_lshrrev_b32_e32 v16, 19, v17
	v_mul_lo_u16_e32 v17, 10, v16
	v_sub_u16_e32 v17, v10, v17
	v_mul_u32_u24_e32 v112, 5, v17
	v_lshlrev_b32_e32 v120, 3, v112
	v_mul_u32_u24_e32 v2, 0x1e0, v2
	s_waitcnt vmcnt(11) lgkmcnt(9)
	v_mul_f32_e32 v6, v46, v19
	v_fma_f32 v125, v47, v18, -v6
	s_waitcnt vmcnt(9)
	v_mul_f32_e32 v6, v48, v27
	v_fma_f32 v131, v49, v26, -v6
	s_waitcnt lgkmcnt(1)
	v_mul_f32_e32 v6, v100, v29
	v_mul_f32_e32 v121, v47, v19
	v_fma_f32 v132, v101, v28, -v6
	v_mul_u32_u24_sdwa v6, v8, s4 dst_sel:DWORD dst_unused:UNUSED_PAD src0_sel:WORD_0 src1_sel:DWORD
	v_fmac_f32_e32 v121, v46, v18
	v_lshrrev_b32_e32 v18, 19, v6
	v_mul_f32_e32 v19, v98, v21
	v_mul_lo_u16_e32 v6, 10, v18
	v_mul_f32_e32 v122, v99, v21
	v_mul_f32_e32 v123, v51, v23
	;; [unrolled: 1-line block ×4, first 2 shown]
	v_fma_f32 v126, v99, v20, -v19
	v_sub_u16_e32 v19, v8, v6
	v_mul_f32_e32 v124, v55, v25
	v_fmac_f32_e32 v122, v98, v20
	v_fmac_f32_e32 v123, v50, v22
	v_fma_f32 v127, v51, v22, -v21
	v_fma_f32 v128, v55, v24, -v23
	global_load_dwordx4 v[20:23], v120, s[12:13] offset:16
	global_load_dwordx4 v[110:113], v120, s[12:13]
	v_mul_f32_e32 v129, v49, v27
	v_mul_f32_e32 v130, v101, v29
	v_mul_u32_u24_e32 v6, 5, v19
	v_fmac_f32_e32 v124, v54, v24
	v_fmac_f32_e32 v129, v48, v26
	;; [unrolled: 1-line block ×3, first 2 shown]
	v_lshlrev_b32_e32 v6, 3, v6
	global_load_dwordx2 v[98:99], v120, s[12:13] offset:32
	global_load_dwordx4 v[24:27], v6, s[12:13]
	s_waitcnt vmcnt(12)
	v_mul_f32_e32 v28, v52, v31
	v_fma_f32 v120, v53, v30, -v28
	v_mul_f32_e32 v28, v56, v33
	v_mul_f32_e32 v133, v53, v31
	v_fma_f32 v135, v57, v32, -v28
	s_waitcnt vmcnt(11) lgkmcnt(0)
	v_mul_f32_e32 v136, v103, v35
	v_mul_f32_e32 v28, v102, v35
	v_fmac_f32_e32 v133, v52, v30
	v_fmac_f32_e32 v136, v102, v34
	v_fma_f32 v102, v103, v34, -v28
	global_load_dwordx2 v[100:101], v6, s[12:13] offset:32
	global_load_dwordx4 v[28:31], v6, s[12:13] offset:16
	v_mul_f32_e32 v103, v71, v37
	v_mul_f32_e32 v6, v70, v37
	v_fmac_f32_e32 v103, v70, v36
	v_fma_f32 v70, v71, v36, -v6
	s_waitcnt vmcnt(12)
	v_mul_f32_e32 v71, v105, v39
	v_mul_f32_e32 v6, v104, v39
	;; [unrolled: 1-line block ×3, first 2 shown]
	v_fmac_f32_e32 v71, v104, v38
	v_fma_f32 v104, v105, v38, -v6
	v_mul_f32_e32 v105, v73, v41
	v_mul_f32_e32 v6, v72, v41
	v_fmac_f32_e32 v134, v56, v32
	ds_read2_b64 v[32:35], v91 offset0:128 offset1:188
	v_fmac_f32_e32 v105, v72, v40
	v_fma_f32 v72, v73, v40, -v6
	s_waitcnt vmcnt(11)
	v_mul_f32_e32 v73, v75, v67
	v_mul_f32_e32 v6, v74, v67
	v_fmac_f32_e32 v73, v74, v66
	v_fma_f32 v66, v75, v66, -v6
	v_mul_f32_e32 v67, v95, v69
	v_mul_f32_e32 v6, v94, v69
	v_fmac_f32_e32 v67, v94, v68
	v_fma_f32 v68, v95, v68, -v6
	s_waitcnt vmcnt(9)
	v_mul_f32_e32 v6, v76, v107
	v_mul_f32_e32 v69, v77, v107
	v_fma_f32 v74, v77, v106, -v6
	v_mul_f32_e32 v6, v96, v109
	s_waitcnt vmcnt(8)
	v_mul_f32_e32 v40, v59, v115
	v_fmac_f32_e32 v69, v76, v106
	v_fma_f32 v76, v97, v108, -v6
	v_fmac_f32_e32 v40, v58, v114
	v_mul_f32_e32 v6, v58, v115
	s_waitcnt vmcnt(7)
	v_mul_f32_e32 v58, v61, v117
	v_fma_f32 v41, v59, v114, -v6
	v_fmac_f32_e32 v58, v60, v116
	v_mul_f32_e32 v6, v60, v117
	s_waitcnt vmcnt(6) lgkmcnt(0)
	v_mul_f32_e32 v60, v33, v119
	ds_read2_b64 v[36:39], v90 offset0:88 offset1:148
	ds_read2_b64 v[46:49], v81 offset0:192 offset1:252
	;; [unrolled: 1-line block ×4, first 2 shown]
	v_fmac_f32_e32 v60, v32, v118
	v_mul_f32_e32 v32, v32, v119
	v_fma_f32 v59, v61, v116, -v6
	v_add_u32_e32 v6, 0x3c00, v86
	v_fma_f32 v61, v33, v118, -v32
	v_mul_f32_e32 v77, v35, v79
	v_mul_f32_e32 v32, v34, v79
	v_fmac_f32_e32 v77, v34, v78
	v_fma_f32 v78, v35, v78, -v32
	ds_read2_b64 v[32:35], v6 offset0:120 offset1:180
	v_mul_f32_e32 v75, v97, v109
	v_fmac_f32_e32 v75, v96, v108
	s_movk_i32 s4, 0x89
	s_waitcnt vmcnt(5) lgkmcnt(2)
	v_mul_f32_e32 v97, v51, v21
	v_mul_f32_e32 v21, v50, v21
	s_waitcnt vmcnt(4)
	v_mul_f32_e32 v79, v37, v111
	v_fmac_f32_e32 v97, v50, v20
	v_fma_f32 v106, v51, v20, -v21
	s_waitcnt lgkmcnt(1)
	v_mul_f32_e32 v20, v54, v23
	v_fmac_f32_e32 v79, v36, v110
	v_mul_f32_e32 v36, v36, v111
	v_fma_f32 v108, v55, v22, -v20
	s_waitcnt vmcnt(2)
	v_mul_f32_e32 v109, v39, v25
	v_mul_f32_e32 v20, v38, v25
	v_fma_f32 v94, v37, v110, -v36
	v_fmac_f32_e32 v109, v38, v24
	v_fma_f32 v110, v39, v24, -v20
	s_waitcnt lgkmcnt(0)
	v_mul_f32_e32 v111, v33, v99
	v_mul_f32_e32 v24, v32, v99
	;; [unrolled: 1-line block ×4, first 2 shown]
	v_fmac_f32_e32 v111, v32, v98
	v_fma_f32 v98, v33, v98, -v24
	v_mul_f32_e32 v24, v48, v27
	v_fmac_f32_e32 v95, v46, v112
	v_fma_f32 v96, v47, v112, -v36
	v_fma_f32 v112, v49, v26, -v24
	s_waitcnt vmcnt(0)
	v_mul_f32_e32 v24, v52, v29
	v_fma_f32 v114, v53, v28, -v24
	v_mul_f32_e32 v24, v56, v31
	v_fma_f32 v116, v57, v30, -v24
	v_mul_f32_e32 v117, v35, v101
	v_mul_f32_e32 v24, v34, v101
	;; [unrolled: 1-line block ×3, first 2 shown]
	v_fmac_f32_e32 v117, v34, v100
	v_fma_f32 v100, v35, v100, -v24
	v_add_f32_e32 v24, v42, v122
	v_fmac_f32_e32 v115, v56, v30
	v_add_f32_e32 v30, v24, v124
	v_add_f32_e32 v24, v122, v124
	v_fma_f32 v31, -0.5, v24, v42
	v_sub_f32_e32 v24, v126, v128
	v_mov_b32_e32 v32, v31
	v_fmac_f32_e32 v32, 0xbf5db3d7, v24
	v_fmac_f32_e32 v31, 0x3f5db3d7, v24
	v_add_f32_e32 v24, v43, v126
	v_add_f32_e32 v33, v24, v128
	;; [unrolled: 1-line block ×3, first 2 shown]
	v_fma_f32 v35, -0.5, v24, v43
	v_sub_f32_e32 v24, v122, v124
	v_mov_b32_e32 v36, v35
	v_fmac_f32_e32 v36, 0x3f5db3d7, v24
	v_fmac_f32_e32 v35, 0xbf5db3d7, v24
	v_add_f32_e32 v24, v121, v123
	v_add_f32_e32 v34, v24, v40
	;; [unrolled: 1-line block ×3, first 2 shown]
	v_fmac_f32_e32 v121, -0.5, v24
	v_mul_f32_e32 v99, v49, v27
	v_sub_f32_e32 v24, v127, v41
	v_mov_b32_e32 v27, v121
	v_fmac_f32_e32 v27, 0xbf5db3d7, v24
	v_fmac_f32_e32 v121, 0x3f5db3d7, v24
	v_add_f32_e32 v24, v125, v127
	v_add_f32_e32 v37, v24, v41
	;; [unrolled: 1-line block ×3, first 2 shown]
	v_fmac_f32_e32 v125, -0.5, v24
	v_mul_f32_e32 v113, v53, v29
	v_sub_f32_e32 v24, v123, v40
	v_mov_b32_e32 v29, v125
	v_fmac_f32_e32 v29, 0x3f5db3d7, v24
	v_fmac_f32_e32 v125, 0xbf5db3d7, v24
	v_mul_f32_e32 v39, 0xbf5db3d7, v125
	v_mul_f32_e32 v40, 0.5, v29
	v_mul_f32_e32 v38, 0xbf5db3d7, v29
	v_fmac_f32_e32 v39, -0.5, v121
	v_fmac_f32_e32 v40, 0x3f5db3d7, v27
	v_fmac_f32_e32 v113, v52, v28
	v_add_f32_e32 v24, v30, v34
	v_fmac_f32_e32 v38, 0.5, v27
	v_add_f32_e32 v28, v31, v39
	v_add_f32_e32 v25, v33, v37
	;; [unrolled: 1-line block ×3, first 2 shown]
	v_sub_f32_e32 v30, v30, v34
	v_sub_f32_e32 v34, v31, v39
	v_sub_f32_e32 v31, v33, v37
	v_sub_f32_e32 v33, v36, v40
	v_add_f32_e32 v36, v44, v130
	v_add_f32_e32 v42, v36, v134
	v_add_f32_e32 v36, v130, v134
	v_fma_f32 v43, -0.5, v36, v44
	v_sub_f32_e32 v36, v132, v135
	v_mov_b32_e32 v44, v43
	v_fmac_f32_e32 v44, 0xbf5db3d7, v36
	v_fmac_f32_e32 v43, 0x3f5db3d7, v36
	v_add_f32_e32 v36, v45, v132
	v_add_f32_e32 v47, v36, v135
	;; [unrolled: 1-line block ×3, first 2 shown]
	v_fmac_f32_e32 v45, -0.5, v36
	v_fmac_f32_e32 v99, v48, v26
	v_sub_f32_e32 v36, v130, v134
	v_mov_b32_e32 v48, v45
	v_fmac_f32_e32 v48, 0x3f5db3d7, v36
	v_fmac_f32_e32 v45, 0xbf5db3d7, v36
	v_add_f32_e32 v36, v129, v133
	v_add_f32_e32 v46, v36, v58
	;; [unrolled: 1-line block ×3, first 2 shown]
	v_fmac_f32_e32 v129, -0.5, v36
	v_sub_f32_e32 v36, v120, v59
	v_mov_b32_e32 v39, v129
	v_fmac_f32_e32 v39, 0xbf5db3d7, v36
	v_fmac_f32_e32 v129, 0x3f5db3d7, v36
	v_add_f32_e32 v36, v131, v120
	v_mul_f32_e32 v41, -0.5, v125
	v_add_f32_e32 v49, v36, v59
	v_add_f32_e32 v36, v120, v59
	v_fmac_f32_e32 v41, 0x3f5db3d7, v121
	v_fmac_f32_e32 v131, -0.5, v36
	v_add_f32_e32 v29, v35, v41
	v_sub_f32_e32 v35, v35, v41
	v_sub_f32_e32 v36, v133, v58
	v_mov_b32_e32 v41, v131
	v_fmac_f32_e32 v41, 0x3f5db3d7, v36
	v_fmac_f32_e32 v131, 0xbf5db3d7, v36
	v_mul_f32_e32 v50, 0xbf5db3d7, v41
	v_mul_f32_e32 v51, 0xbf5db3d7, v131
	v_mul_f32_e32 v52, 0.5, v41
	v_fmac_f32_e32 v50, 0.5, v39
	v_fmac_f32_e32 v51, -0.5, v129
	v_fmac_f32_e32 v52, 0x3f5db3d7, v39
	v_mul_f32_e32 v107, v55, v23
	v_add_f32_e32 v26, v32, v38
	v_sub_f32_e32 v32, v32, v38
	v_add_f32_e32 v36, v42, v46
	v_add_f32_e32 v38, v44, v50
	;; [unrolled: 1-line block ×5, first 2 shown]
	v_sub_f32_e32 v42, v42, v46
	v_sub_f32_e32 v46, v44, v50
	;; [unrolled: 1-line block ×5, first 2 shown]
	v_add_f32_e32 v48, v62, v103
	v_fmac_f32_e32 v107, v54, v22
	v_add_f32_e32 v54, v48, v67
	v_add_f32_e32 v48, v103, v67
	v_fma_f32 v55, -0.5, v48, v62
	v_sub_f32_e32 v48, v70, v68
	v_mov_b32_e32 v56, v55
	v_fmac_f32_e32 v56, 0xbf5db3d7, v48
	v_fmac_f32_e32 v55, 0x3f5db3d7, v48
	v_add_f32_e32 v48, v63, v70
	v_add_f32_e32 v57, v48, v68
	;; [unrolled: 1-line block ×3, first 2 shown]
	v_fma_f32 v59, -0.5, v48, v63
	v_sub_f32_e32 v48, v103, v67
	v_mov_b32_e32 v62, v59
	v_fmac_f32_e32 v62, 0x3f5db3d7, v48
	v_fmac_f32_e32 v59, 0xbf5db3d7, v48
	v_add_f32_e32 v48, v136, v73
	v_add_f32_e32 v58, v48, v60
	;; [unrolled: 1-line block ×3, first 2 shown]
	v_fmac_f32_e32 v136, -0.5, v48
	v_sub_f32_e32 v48, v66, v61
	v_mov_b32_e32 v51, v136
	v_fmac_f32_e32 v51, 0xbf5db3d7, v48
	v_fmac_f32_e32 v136, 0x3f5db3d7, v48
	v_add_f32_e32 v48, v102, v66
	v_mul_f32_e32 v53, -0.5, v131
	v_add_f32_e32 v63, v48, v61
	v_add_f32_e32 v48, v66, v61
	v_fmac_f32_e32 v53, 0x3f5db3d7, v129
	v_fmac_f32_e32 v102, -0.5, v48
	v_add_f32_e32 v41, v45, v53
	v_sub_f32_e32 v45, v45, v53
	v_sub_f32_e32 v48, v73, v60
	v_mov_b32_e32 v53, v102
	v_fmac_f32_e32 v53, 0x3f5db3d7, v48
	v_mul_f32_e32 v60, 0xbf5db3d7, v53
	v_fmac_f32_e32 v60, 0.5, v51
	v_add_f32_e32 v50, v56, v60
	v_sub_f32_e32 v56, v56, v60
	v_add_f32_e32 v60, v64, v105
	v_add_f32_e32 v68, v60, v75
	;; [unrolled: 1-line block ×3, first 2 shown]
	v_fma_f32 v64, -0.5, v60, v64
	v_sub_f32_e32 v60, v72, v76
	v_mov_b32_e32 v70, v64
	v_fmac_f32_e32 v70, 0xbf5db3d7, v60
	v_fmac_f32_e32 v64, 0x3f5db3d7, v60
	v_add_f32_e32 v60, v65, v72
	v_add_f32_e32 v73, v60, v76
	;; [unrolled: 1-line block ×3, first 2 shown]
	v_fmac_f32_e32 v65, -0.5, v60
	v_sub_f32_e32 v60, v105, v75
	v_mov_b32_e32 v72, v65
	v_fmac_f32_e32 v102, 0xbf5db3d7, v48
	v_fmac_f32_e32 v72, 0x3f5db3d7, v60
	;; [unrolled: 1-line block ×3, first 2 shown]
	v_add_f32_e32 v60, v71, v69
	v_mul_f32_e32 v61, 0xbf5db3d7, v102
	v_add_f32_e32 v75, v60, v77
	v_add_f32_e32 v60, v69, v77
	v_fmac_f32_e32 v61, -0.5, v136
	v_fmac_f32_e32 v71, -0.5, v60
	v_add_f32_e32 v48, v54, v58
	v_add_f32_e32 v52, v55, v61
	;; [unrolled: 1-line block ×3, first 2 shown]
	v_sub_f32_e32 v54, v54, v58
	v_sub_f32_e32 v58, v55, v61
	v_sub_f32_e32 v55, v57, v63
	v_sub_f32_e32 v60, v74, v78
	v_mov_b32_e32 v63, v71
	v_fmac_f32_e32 v63, 0xbf5db3d7, v60
	v_fmac_f32_e32 v71, 0x3f5db3d7, v60
	v_add_f32_e32 v60, v104, v74
	v_mul_f32_e32 v67, -0.5, v102
	v_add_f32_e32 v76, v60, v78
	v_add_f32_e32 v60, v74, v78
	ds_read2_b64 v[20:23], v93 offset0:112 offset1:172
	v_fmac_f32_e32 v67, 0x3f5db3d7, v136
	v_fmac_f32_e32 v104, -0.5, v60
	v_mul_f32_e32 v66, 0.5, v53
	v_add_f32_e32 v53, v59, v67
	v_sub_f32_e32 v59, v59, v67
	v_sub_f32_e32 v60, v69, v77
	v_mov_b32_e32 v67, v104
	v_fmac_f32_e32 v67, 0x3f5db3d7, v60
	v_fmac_f32_e32 v104, 0xbf5db3d7, v60
	v_mul_f32_e32 v77, 0.5, v67
	v_mul_f32_e32 v69, 0xbf5db3d7, v67
	v_mul_f32_e32 v74, 0xbf5db3d7, v104
	v_fmac_f32_e32 v77, 0x3f5db3d7, v63
	v_mul_f32_e32 v78, -0.5, v104
	v_fmac_f32_e32 v66, 0x3f5db3d7, v51
	v_fmac_f32_e32 v69, 0.5, v63
	v_fmac_f32_e32 v74, -0.5, v71
	v_add_f32_e32 v63, v72, v77
	v_fmac_f32_e32 v78, 0x3f5db3d7, v71
	v_sub_f32_e32 v71, v72, v77
	s_waitcnt lgkmcnt(0)
	v_add_f32_e32 v72, v20, v95
	v_add_f32_e32 v51, v62, v66
	v_sub_f32_e32 v57, v62, v66
	v_add_f32_e32 v62, v70, v69
	v_add_f32_e32 v61, v73, v76
	v_sub_f32_e32 v70, v70, v69
	v_sub_f32_e32 v69, v73, v76
	v_add_f32_e32 v76, v72, v107
	v_add_f32_e32 v72, v95, v107
	v_fma_f32 v77, -0.5, v72, v20
	v_add_f32_e32 v67, v65, v78
	v_sub_f32_e32 v65, v65, v78
	v_sub_f32_e32 v20, v96, v108
	v_mov_b32_e32 v78, v77
	v_fmac_f32_e32 v78, 0xbf5db3d7, v20
	v_fmac_f32_e32 v77, 0x3f5db3d7, v20
	v_add_f32_e32 v20, v21, v96
	v_add_f32_e32 v101, v20, v108
	;; [unrolled: 1-line block ×3, first 2 shown]
	v_fma_f32 v96, -0.5, v20, v21
	v_sub_f32_e32 v20, v95, v107
	v_mov_b32_e32 v95, v96
	v_fmac_f32_e32 v95, 0x3f5db3d7, v20
	v_fmac_f32_e32 v96, 0xbf5db3d7, v20
	v_add_f32_e32 v20, v79, v97
	v_add_f32_e32 v102, v20, v111
	v_add_f32_e32 v20, v97, v111
	v_fmac_f32_e32 v79, -0.5, v20
	v_sub_f32_e32 v20, v106, v98
	v_mov_b32_e32 v73, v79
	v_fmac_f32_e32 v73, 0xbf5db3d7, v20
	v_fmac_f32_e32 v79, 0x3f5db3d7, v20
	v_add_f32_e32 v20, v94, v106
	v_add_f32_e32 v103, v20, v98
	v_add_f32_e32 v20, v106, v98
	v_fmac_f32_e32 v94, -0.5, v20
	v_add_f32_e32 v60, v68, v75
	v_sub_f32_e32 v68, v68, v75
	v_sub_f32_e32 v20, v97, v111
	v_mov_b32_e32 v75, v94
	v_fmac_f32_e32 v75, 0x3f5db3d7, v20
	v_fmac_f32_e32 v94, 0xbf5db3d7, v20
	v_mul_f32_e32 v104, 0.5, v75
	v_mul_f32_e32 v105, -0.5, v94
	v_mul_f32_e32 v97, 0xbf5db3d7, v75
	v_mul_f32_e32 v98, 0xbf5db3d7, v94
	v_fmac_f32_e32 v104, 0x3f5db3d7, v73
	v_fmac_f32_e32 v105, 0x3f5db3d7, v79
	v_fmac_f32_e32 v97, 0.5, v73
	v_fmac_f32_e32 v98, -0.5, v79
	v_add_f32_e32 v73, v95, v104
	v_add_f32_e32 v75, v96, v105
	v_sub_f32_e32 v79, v95, v104
	v_sub_f32_e32 v95, v96, v105
	v_add_f32_e32 v96, v22, v99
	v_add_f32_e32 v20, v76, v102
	v_sub_f32_e32 v76, v76, v102
	v_add_f32_e32 v102, v96, v115
	v_add_f32_e32 v96, v99, v115
	v_fma_f32 v22, -0.5, v96, v22
	v_add_f32_e32 v66, v64, v74
	v_sub_f32_e32 v64, v64, v74
	v_add_f32_e32 v74, v77, v98
	v_add_f32_e32 v21, v101, v103
	v_sub_f32_e32 v94, v77, v98
	v_sub_f32_e32 v77, v101, v103
	;; [unrolled: 1-line block ×3, first 2 shown]
	v_mov_b32_e32 v103, v22
	v_fmac_f32_e32 v103, 0xbf5db3d7, v96
	v_fmac_f32_e32 v22, 0x3f5db3d7, v96
	v_add_f32_e32 v96, v23, v112
	v_add_f32_e32 v105, v96, v116
	v_add_f32_e32 v96, v112, v116
	v_fmac_f32_e32 v23, -0.5, v96
	v_sub_f32_e32 v96, v99, v115
	v_mov_b32_e32 v106, v23
	v_fmac_f32_e32 v106, 0x3f5db3d7, v96
	v_fmac_f32_e32 v23, 0xbf5db3d7, v96
	v_add_f32_e32 v96, v109, v113
	v_add_f32_e32 v104, v96, v117
	v_add_f32_e32 v96, v113, v117
	v_fmac_f32_e32 v109, -0.5, v96
	v_sub_f32_e32 v96, v114, v100
	;; [unrolled: 8-line block ×3, first 2 shown]
	v_mov_b32_e32 v101, v110
	v_fmac_f32_e32 v101, 0x3f5db3d7, v96
	v_mul_f32_e32 v108, 0xbf5db3d7, v101
	v_mul_f32_e32 v112, 0.5, v101
	v_fmac_f32_e32 v108, 0.5, v99
	v_fmac_f32_e32 v112, 0x3f5db3d7, v99
	v_add_f32_e32 v72, v78, v97
	v_sub_f32_e32 v78, v78, v97
	v_fmac_f32_e32 v110, 0xbf5db3d7, v96
	v_add_f32_e32 v96, v102, v104
	v_add_f32_e32 v98, v103, v108
	;; [unrolled: 1-line block ×4, first 2 shown]
	v_sub_f32_e32 v102, v102, v104
	v_sub_f32_e32 v104, v103, v108
	;; [unrolled: 1-line block ×4, first 2 shown]
	v_mov_b32_e32 v106, 3
	v_lshlrev_b32_sdwa v3, v106, v3 dst_sel:DWORD dst_unused:UNUSED_PAD src0_sel:DWORD src1_sel:BYTE_0
	v_add3_u32 v2, 0, v2, v3
	s_waitcnt lgkmcnt(0)
	; wave barrier
	ds_write2_b64 v2, v[24:25], v[26:27] offset1:10
	ds_write2_b64 v2, v[28:29], v[30:31] offset0:20 offset1:30
	ds_write2_b64 v2, v[32:33], v[34:35] offset0:40 offset1:50
	v_mul_u32_u24_e32 v2, 0x1e0, v9
	v_lshlrev_b32_sdwa v3, v106, v11 dst_sel:DWORD dst_unused:UNUSED_PAD src0_sel:DWORD src1_sel:BYTE_0
	v_add3_u32 v2, 0, v2, v3
	ds_write2_b64 v2, v[36:37], v[38:39] offset1:10
	ds_write2_b64 v2, v[40:41], v[42:43] offset0:20 offset1:30
	ds_write2_b64 v2, v[46:47], v[44:45] offset0:40 offset1:50
	v_mul_u32_u24_e32 v2, 0x1e0, v12
	v_lshlrev_b32_sdwa v3, v106, v13 dst_sel:DWORD dst_unused:UNUSED_PAD src0_sel:DWORD src1_sel:BYTE_0
	v_add3_u32 v2, 0, v2, v3
	;; [unrolled: 6-line block ×3, first 2 shown]
	ds_write2_b64 v2, v[60:61], v[62:63] offset1:10
	ds_write2_b64 v2, v[66:67], v[68:69] offset0:20 offset1:30
	ds_write2_b64 v2, v[70:71], v[64:65] offset0:40 offset1:50
	v_mul_u32_u24_e32 v2, 0x1e0, v16
	v_lshlrev_b32_e32 v3, 3, v17
	v_add3_u32 v2, 0, v2, v3
	v_mul_f32_e32 v111, 0xbf5db3d7, v110
	v_mul_f32_e32 v110, -0.5, v110
	ds_write2_b64 v2, v[20:21], v[72:73] offset1:10
	ds_write2_b64 v2, v[74:75], v[76:77] offset0:20 offset1:30
	ds_write2_b64 v2, v[78:79], v[94:95] offset0:40 offset1:50
	v_mul_u32_u24_e32 v2, 0x1e0, v18
	v_lshlrev_b32_e32 v3, 3, v19
	v_fmac_f32_e32 v111, -0.5, v109
	v_fmac_f32_e32 v110, 0x3f5db3d7, v109
	v_add3_u32 v2, 0, v2, v3
	v_add_f32_e32 v100, v22, v111
	v_add_f32_e32 v101, v23, v110
	v_sub_f32_e32 v22, v22, v111
	v_sub_f32_e32 v23, v23, v110
	ds_write2_b64 v2, v[96:97], v[98:99] offset1:10
	ds_write2_b64 v2, v[100:101], v[102:103] offset0:20 offset1:30
	ds_write2_b64 v2, v[104:105], v[22:23] offset0:40 offset1:50
	v_mul_u32_u24_e32 v2, 5, v80
	v_lshlrev_b32_e32 v9, 3, v2
	s_waitcnt lgkmcnt(0)
	; wave barrier
	s_waitcnt lgkmcnt(0)
	global_load_dwordx4 v[13:16], v9, s[12:13] offset:400
	global_load_dwordx4 v[17:20], v9, s[12:13] offset:416
	ds_read2_b64 v[21:24], v86 offset1:60
	ds_read2_b64 v[25:28], v89 offset0:104 offset1:164
	ds_read2_b64 v[29:32], v5 offset0:80 offset1:140
	;; [unrolled: 1-line block ×5, first 2 shown]
	global_load_dwordx2 v[77:78], v9, s[12:13] offset:432
	v_mul_lo_u16_sdwa v2, v0, s4 dst_sel:DWORD dst_unused:UNUSED_PAD src0_sel:BYTE_0 src1_sel:DWORD
	v_lshrrev_b16_e32 v2, 13, v2
	v_mul_lo_u16_e32 v2, 60, v2
	v_sub_u16_e32 v0, v0, v2
	v_and_b32_e32 v11, 0xff, v0
	v_mul_u32_u24_e32 v0, 5, v11
	v_lshlrev_b32_e32 v79, 3, v0
	global_load_dwordx4 v[45:48], v79, s[12:13] offset:400
	v_mul_lo_u16_sdwa v0, v1, s4 dst_sel:DWORD dst_unused:UNUSED_PAD src0_sel:BYTE_0 src1_sel:DWORD
	v_lshrrev_b16_e32 v0, 13, v0
	v_mul_lo_u16_e32 v0, 60, v0
	v_sub_u16_e32 v0, v1, v0
	v_and_b32_e32 v12, 0xff, v0
	v_mul_u32_u24_e32 v0, 5, v12
	v_lshlrev_b32_e32 v102, 3, v0
	global_load_dwordx4 v[49:52], v102, s[12:13] offset:416
	global_load_dwordx4 v[53:56], v102, s[12:13] offset:400
	ds_read2_b64 v[57:60], v86 offset0:120 offset1:180
	ds_read2_b64 v[61:64], v4 offset0:96 offset1:156
	;; [unrolled: 1-line block ×7, first 2 shown]
	global_load_dwordx2 v[106:107], v79, s[12:13] offset:432
	global_load_dwordx4 v[98:101], v79, s[12:13] offset:416
	s_mov_b32 s4, 0x8889
	global_load_dwordx2 v[108:109], v102, s[12:13] offset:432
	v_lshl_add_u32 v11, v11, 3, 0
	s_waitcnt vmcnt(8) lgkmcnt(11)
	v_mul_f32_e32 v112, v14, v26
	v_fmac_f32_e32 v112, v13, v25
	v_mul_f32_e32 v25, v14, v25
	v_fma_f32 v79, v13, v26, -v25
	s_waitcnt lgkmcnt(10)
	v_mul_f32_e32 v25, v16, v29
	v_fma_f32 v114, v15, v30, -v25
	s_waitcnt vmcnt(7) lgkmcnt(9)
	v_mul_f32_e32 v25, v33, v18
	v_fma_f32 v116, v34, v17, -v25
	s_waitcnt lgkmcnt(8)
	v_mul_f32_e32 v25, v37, v20
	v_fma_f32 v118, v38, v19, -v25
	v_mul_u32_u24_sdwa v25, v10, s4 dst_sel:DWORD dst_unused:UNUSED_PAD src0_sel:WORD_0 src1_sel:DWORD
	v_mul_f32_e32 v119, v28, v14
	v_lshrrev_b32_e32 v25, 21, v25
	v_mul_f32_e32 v14, v27, v14
	v_mul_lo_u16_e32 v25, 60, v25
	v_fmac_f32_e32 v119, v27, v13
	v_fma_f32 v120, v28, v13, -v14
	v_mul_f32_e32 v13, v31, v16
	v_sub_u16_e32 v10, v10, v25
	v_fma_f32 v122, v32, v15, -v13
	v_mul_u32_u24_sdwa v13, v8, s4 dst_sel:DWORD dst_unused:UNUSED_PAD src0_sel:WORD_0 src1_sel:DWORD
	v_mul_f32_e32 v113, v16, v30
	v_mul_u32_u24_e32 v25, 5, v10
	v_lshrrev_b32_e32 v13, 21, v13
	v_fmac_f32_e32 v113, v15, v29
	v_lshlrev_b32_e32 v29, 3, v25
	v_mul_lo_u16_e32 v13, 60, v13
	global_load_dwordx4 v[102:105], v29, s[12:13] offset:400
	v_sub_u16_e32 v8, v8, v13
	v_mul_f32_e32 v115, v34, v18
	v_mul_f32_e32 v117, v38, v20
	v_mul_u32_u24_e32 v13, 5, v8
	v_fmac_f32_e32 v115, v33, v17
	v_fmac_f32_e32 v117, v37, v19
	v_mul_f32_e32 v121, v32, v16
	v_lshlrev_b32_e32 v37, 3, v13
	s_waitcnt vmcnt(7) lgkmcnt(7)
	v_mul_f32_e32 v33, v41, v78
	v_fmac_f32_e32 v121, v31, v15
	global_load_dwordx2 v[110:111], v29, s[12:13] offset:432
	global_load_dwordx4 v[25:28], v29, s[12:13] offset:416
	global_load_dwordx4 v[13:16], v37, s[12:13] offset:416
	s_nop 0
	global_load_dwordx4 v[29:32], v37, s[12:13] offset:400
	v_mul_f32_e32 v127, v42, v78
	v_fma_f32 v128, v42, v77, -v33
	v_mul_f32_e32 v129, v44, v78
	v_mul_f32_e32 v33, v43, v78
	v_fmac_f32_e32 v127, v41, v77
	v_fmac_f32_e32 v129, v43, v77
	v_fma_f32 v130, v44, v77, -v33
	global_load_dwordx2 v[77:78], v37, s[12:13] offset:432
	v_mul_f32_e32 v123, v36, v18
	v_mul_f32_e32 v18, v35, v18
	v_fmac_f32_e32 v123, v35, v17
	v_fma_f32 v124, v36, v17, -v18
	v_mul_f32_e32 v125, v40, v20
	v_mul_f32_e32 v17, v39, v20
	s_waitcnt vmcnt(11) lgkmcnt(5)
	v_mul_f32_e32 v131, v62, v46
	v_mul_f32_e32 v37, v61, v46
	v_fmac_f32_e32 v125, v39, v19
	v_fma_f32 v126, v40, v19, -v17
	ds_read2_b64 v[17:20], v90 offset0:88 offset1:148
	v_fmac_f32_e32 v131, v61, v45
	v_fma_f32 v61, v62, v45, -v37
	s_waitcnt lgkmcnt(5)
	v_mul_f32_e32 v62, v66, v48
	v_mul_f32_e32 v37, v65, v48
	v_fmac_f32_e32 v62, v65, v47
	v_fma_f32 v65, v66, v47, -v37
	s_waitcnt vmcnt(9)
	v_mul_f32_e32 v66, v64, v54
	v_mul_f32_e32 v37, v63, v54
	s_waitcnt vmcnt(7) lgkmcnt(4)
	v_mul_f32_e32 v45, v69, v99
	ds_read2_b64 v[33:36], v81 offset0:192 offset1:252
	v_fmac_f32_e32 v66, v63, v53
	v_fma_f32 v54, v64, v53, -v37
	ds_read2_b64 v[37:40], v87 offset0:40 offset1:100
	v_mul_f32_e32 v53, v68, v56
	v_mul_f32_e32 v41, v67, v56
	v_fma_f32 v63, v70, v98, -v45
	s_waitcnt lgkmcnt(5)
	v_mul_f32_e32 v45, v73, v101
	v_fmac_f32_e32 v53, v67, v55
	v_fma_f32 v55, v68, v55, -v41
	ds_read2_b64 v[41:44], v88 offset0:144 offset1:204
	v_fma_f32 v67, v74, v100, -v45
	v_mul_f32_e32 v68, v72, v50
	v_mul_f32_e32 v45, v71, v50
	v_fmac_f32_e32 v68, v71, v49
	v_fma_f32 v49, v72, v49, -v45
	ds_read2_b64 v[45:48], v6 offset0:120 offset1:180
	v_mul_f32_e32 v64, v74, v101
	v_mul_f32_e32 v56, v70, v99
	v_fmac_f32_e32 v64, v73, v100
	v_mul_f32_e32 v70, v76, v52
	v_fmac_f32_e32 v56, v69, v98
	s_waitcnt lgkmcnt(6)
	v_mul_f32_e32 v50, v95, v107
	v_mul_f32_e32 v69, v94, v107
	v_fmac_f32_e32 v70, v75, v51
	v_mul_f32_e32 v52, v75, v52
	v_fmac_f32_e32 v50, v94, v106
	v_fma_f32 v69, v95, v106, -v69
	v_fma_f32 v51, v76, v51, -v52
	s_waitcnt vmcnt(6)
	v_mul_f32_e32 v52, v97, v109
	v_fmac_f32_e32 v52, v96, v108
	v_mul_f32_e32 v71, v96, v109
	v_fma_f32 v71, v97, v108, -v71
	s_waitcnt lgkmcnt(0)
	; wave barrier
	s_waitcnt lgkmcnt(0)
	v_lshl_add_u32 v10, v10, 3, 0
	s_movk_i32 s4, 0x1450
	s_waitcnt vmcnt(5)
	v_mul_f32_e32 v72, v18, v103
	v_fmac_f32_e32 v72, v17, v102
	v_mul_f32_e32 v17, v17, v103
	v_fma_f32 v73, v18, v102, -v17
	v_mul_f32_e32 v74, v34, v105
	v_mul_f32_e32 v17, v33, v105
	v_fmac_f32_e32 v74, v33, v104
	v_fma_f32 v75, v34, v104, -v17
	s_waitcnt vmcnt(4)
	v_mul_f32_e32 v97, v46, v111
	s_waitcnt vmcnt(2)
	v_mul_f32_e32 v103, v40, v14
	v_mul_f32_e32 v14, v39, v14
	;; [unrolled: 1-line block ×3, first 2 shown]
	v_fmac_f32_e32 v103, v39, v13
	v_fma_f32 v104, v40, v13, -v14
	v_mul_f32_e32 v13, v43, v16
	v_fma_f32 v94, v38, v25, -v17
	v_mul_f32_e32 v17, v41, v28
	v_fma_f32 v106, v44, v15, -v13
	s_waitcnt vmcnt(0)
	v_mul_f32_e32 v107, v48, v78
	v_mul_f32_e32 v13, v47, v78
	v_fma_f32 v96, v42, v27, -v17
	v_mul_f32_e32 v17, v45, v111
	v_mul_f32_e32 v99, v20, v30
	v_fmac_f32_e32 v107, v47, v77
	v_fma_f32 v77, v48, v77, -v13
	v_add_f32_e32 v13, v21, v113
	v_fma_f32 v98, v46, v110, -v17
	v_fmac_f32_e32 v99, v19, v29
	v_mul_f32_e32 v17, v19, v30
	v_add_f32_e32 v19, v13, v117
	v_add_f32_e32 v13, v113, v117
	v_fma_f32 v100, v20, v29, -v17
	v_fma_f32 v20, -0.5, v13, v21
	v_sub_f32_e32 v13, v114, v118
	v_mov_b32_e32 v21, v20
	v_fmac_f32_e32 v21, 0xbf5db3d7, v13
	v_fmac_f32_e32 v20, 0x3f5db3d7, v13
	v_add_f32_e32 v13, v22, v114
	v_mul_f32_e32 v76, v38, v26
	v_mul_f32_e32 v95, v42, v28
	v_add_f32_e32 v26, v13, v118
	v_add_f32_e32 v13, v114, v118
	v_fmac_f32_e32 v95, v41, v27
	v_fma_f32 v27, -0.5, v13, v22
	v_sub_f32_e32 v13, v113, v117
	v_mov_b32_e32 v22, v27
	v_fmac_f32_e32 v22, 0x3f5db3d7, v13
	v_fmac_f32_e32 v27, 0xbf5db3d7, v13
	v_add_f32_e32 v13, v112, v115
	v_fmac_f32_e32 v76, v37, v25
	v_add_f32_e32 v25, v13, v127
	v_add_f32_e32 v13, v115, v127
	v_fmac_f32_e32 v112, -0.5, v13
	v_mul_f32_e32 v105, v44, v16
	v_sub_f32_e32 v13, v116, v128
	v_mov_b32_e32 v16, v112
	v_fmac_f32_e32 v16, 0xbf5db3d7, v13
	v_fmac_f32_e32 v112, 0x3f5db3d7, v13
	v_add_f32_e32 v13, v79, v116
	v_add_f32_e32 v28, v13, v128
	;; [unrolled: 1-line block ×3, first 2 shown]
	v_fmac_f32_e32 v79, -0.5, v13
	v_sub_f32_e32 v13, v115, v127
	v_mov_b32_e32 v18, v79
	v_fmac_f32_e32 v79, 0xbf5db3d7, v13
	v_mul_f32_e32 v101, v36, v32
	v_mul_f32_e32 v17, v35, v32
	;; [unrolled: 1-line block ×3, first 2 shown]
	v_mul_f32_e32 v32, -0.5, v79
	v_fmac_f32_e32 v18, 0x3f5db3d7, v13
	v_fmac_f32_e32 v30, -0.5, v112
	v_fmac_f32_e32 v32, 0x3f5db3d7, v112
	v_fmac_f32_e32 v101, v35, v31
	v_fma_f32 v102, v36, v31, -v17
	v_add_f32_e32 v13, v19, v25
	v_mul_f32_e32 v29, 0xbf5db3d7, v18
	v_add_f32_e32 v17, v20, v30
	v_add_f32_e32 v14, v26, v28
	v_mul_f32_e32 v31, 0.5, v18
	v_add_f32_e32 v18, v27, v32
	v_sub_f32_e32 v19, v19, v25
	v_sub_f32_e32 v25, v20, v30
	;; [unrolled: 1-line block ×4, first 2 shown]
	v_add_f32_e32 v27, v23, v121
	v_add_f32_e32 v33, v27, v125
	;; [unrolled: 1-line block ×3, first 2 shown]
	v_fma_f32 v23, -0.5, v27, v23
	v_sub_f32_e32 v27, v122, v126
	v_mov_b32_e32 v34, v23
	v_fmac_f32_e32 v34, 0xbf5db3d7, v27
	v_fmac_f32_e32 v23, 0x3f5db3d7, v27
	v_add_f32_e32 v27, v24, v122
	v_add_f32_e32 v36, v27, v126
	v_add_f32_e32 v27, v122, v126
	v_fmac_f32_e32 v24, -0.5, v27
	v_sub_f32_e32 v27, v121, v125
	v_mov_b32_e32 v37, v24
	v_fmac_f32_e32 v37, 0x3f5db3d7, v27
	v_fmac_f32_e32 v24, 0xbf5db3d7, v27
	v_add_f32_e32 v27, v119, v123
	v_add_f32_e32 v35, v27, v129
	v_add_f32_e32 v27, v123, v129
	v_fmac_f32_e32 v119, -0.5, v27
	;; [unrolled: 8-line block ×3, first 2 shown]
	v_sub_f32_e32 v27, v123, v129
	v_mov_b32_e32 v32, v120
	v_fmac_f32_e32 v32, 0x3f5db3d7, v27
	v_mul_f32_e32 v39, 0xbf5db3d7, v32
	v_mul_f32_e32 v41, 0.5, v32
	v_fmac_f32_e32 v29, 0.5, v16
	v_fmac_f32_e32 v39, 0.5, v30
	v_fmac_f32_e32 v41, 0x3f5db3d7, v30
	v_fmac_f32_e32 v105, v43, v15
	v_add_f32_e32 v15, v21, v29
	v_sub_f32_e32 v21, v21, v29
	v_fmac_f32_e32 v120, 0xbf5db3d7, v27
	v_add_f32_e32 v27, v33, v35
	v_add_f32_e32 v29, v34, v39
	;; [unrolled: 1-line block ×4, first 2 shown]
	v_sub_f32_e32 v33, v33, v35
	v_sub_f32_e32 v35, v34, v39
	v_sub_f32_e32 v34, v36, v38
	v_sub_f32_e32 v36, v37, v41
	v_add_f32_e32 v37, v57, v62
	v_add_f32_e32 v43, v37, v64
	;; [unrolled: 1-line block ×3, first 2 shown]
	v_fma_f32 v44, -0.5, v37, v57
	v_fmac_f32_e32 v97, v45, v110
	v_sub_f32_e32 v37, v65, v67
	v_mov_b32_e32 v45, v44
	v_fmac_f32_e32 v45, 0xbf5db3d7, v37
	v_fmac_f32_e32 v44, 0x3f5db3d7, v37
	v_add_f32_e32 v37, v58, v65
	v_add_f32_e32 v46, v37, v67
	;; [unrolled: 1-line block ×3, first 2 shown]
	v_fma_f32 v48, -0.5, v37, v58
	v_sub_f32_e32 v37, v62, v64
	v_mov_b32_e32 v57, v48
	v_fmac_f32_e32 v57, 0x3f5db3d7, v37
	v_fmac_f32_e32 v48, 0xbf5db3d7, v37
	v_add_f32_e32 v37, v131, v56
	v_mul_f32_e32 v40, 0xbf5db3d7, v120
	v_add_f32_e32 v47, v37, v50
	v_add_f32_e32 v37, v56, v50
	v_fmac_f32_e32 v31, 0x3f5db3d7, v16
	v_fmac_f32_e32 v40, -0.5, v119
	v_fmac_f32_e32 v131, -0.5, v37
	v_add_f32_e32 v16, v22, v31
	v_sub_f32_e32 v22, v22, v31
	v_add_f32_e32 v31, v23, v40
	v_sub_f32_e32 v23, v23, v40
	v_sub_f32_e32 v37, v63, v69
	v_mov_b32_e32 v40, v131
	v_fmac_f32_e32 v40, 0xbf5db3d7, v37
	v_fmac_f32_e32 v131, 0x3f5db3d7, v37
	v_add_f32_e32 v37, v61, v63
	v_mul_f32_e32 v42, -0.5, v120
	v_add_f32_e32 v58, v37, v69
	v_add_f32_e32 v37, v63, v69
	v_fmac_f32_e32 v42, 0x3f5db3d7, v119
	v_fmac_f32_e32 v61, -0.5, v37
	v_add_f32_e32 v32, v24, v42
	v_sub_f32_e32 v24, v24, v42
	v_sub_f32_e32 v37, v56, v50
	v_mov_b32_e32 v42, v61
	v_fmac_f32_e32 v42, 0x3f5db3d7, v37
	v_fmac_f32_e32 v61, 0xbf5db3d7, v37
	v_mul_f32_e32 v50, 0xbf5db3d7, v42
	v_fmac_f32_e32 v50, 0.5, v40
	v_mul_f32_e32 v56, 0xbf5db3d7, v61
	v_add_f32_e32 v39, v45, v50
	v_fmac_f32_e32 v56, -0.5, v131
	v_sub_f32_e32 v45, v45, v50
	v_add_f32_e32 v50, v59, v53
	v_add_f32_e32 v37, v43, v47
	;; [unrolled: 1-line block ×3, first 2 shown]
	v_mul_f32_e32 v62, 0.5, v42
	v_sub_f32_e32 v43, v43, v47
	v_sub_f32_e32 v47, v44, v56
	v_add_f32_e32 v56, v50, v70
	v_add_f32_e32 v50, v53, v70
	;; [unrolled: 1-line block ×3, first 2 shown]
	v_fmac_f32_e32 v62, 0x3f5db3d7, v40
	v_sub_f32_e32 v44, v46, v58
	v_fma_f32 v58, -0.5, v50, v59
	v_add_f32_e32 v40, v57, v62
	v_mul_f32_e32 v61, -0.5, v61
	v_sub_f32_e32 v46, v57, v62
	v_sub_f32_e32 v50, v55, v51
	v_mov_b32_e32 v57, v58
	v_fmac_f32_e32 v61, 0x3f5db3d7, v131
	v_fmac_f32_e32 v57, 0xbf5db3d7, v50
	;; [unrolled: 1-line block ×3, first 2 shown]
	v_add_f32_e32 v50, v60, v55
	v_add_f32_e32 v42, v48, v61
	v_sub_f32_e32 v48, v48, v61
	v_add_f32_e32 v61, v50, v51
	v_add_f32_e32 v50, v55, v51
	v_fmac_f32_e32 v60, -0.5, v50
	v_sub_f32_e32 v50, v53, v70
	v_mov_b32_e32 v62, v60
	v_fmac_f32_e32 v62, 0x3f5db3d7, v50
	v_fmac_f32_e32 v60, 0xbf5db3d7, v50
	v_add_f32_e32 v50, v66, v68
	v_add_f32_e32 v55, v50, v52
	;; [unrolled: 1-line block ×3, first 2 shown]
	v_fmac_f32_e32 v66, -0.5, v50
	v_sub_f32_e32 v50, v49, v71
	v_mov_b32_e32 v59, v66
	v_fmac_f32_e32 v59, 0xbf5db3d7, v50
	v_fmac_f32_e32 v66, 0x3f5db3d7, v50
	v_add_f32_e32 v50, v54, v49
	v_add_f32_e32 v49, v49, v71
	v_fmac_f32_e32 v54, -0.5, v49
	v_sub_f32_e32 v49, v68, v52
	v_mov_b32_e32 v52, v54
	v_fmac_f32_e32 v54, 0xbf5db3d7, v49
	v_add_f32_e32 v63, v50, v71
	v_fmac_f32_e32 v52, 0x3f5db3d7, v49
	v_mul_f32_e32 v65, 0xbf5db3d7, v54
	v_add_f32_e32 v49, v56, v55
	v_mul_f32_e32 v64, 0xbf5db3d7, v52
	v_fmac_f32_e32 v65, -0.5, v66
	v_add_f32_e32 v50, v61, v63
	v_mul_f32_e32 v67, 0.5, v52
	v_sub_f32_e32 v55, v56, v55
	v_sub_f32_e32 v56, v61, v63
	v_add_f32_e32 v61, v0, v74
	v_fmac_f32_e32 v64, 0.5, v59
	v_add_f32_e32 v53, v58, v65
	v_fmac_f32_e32 v67, 0x3f5db3d7, v59
	v_mul_f32_e32 v68, -0.5, v54
	v_sub_f32_e32 v59, v58, v65
	v_add_f32_e32 v65, v61, v95
	v_add_f32_e32 v61, v74, v95
	v_fmac_f32_e32 v68, 0x3f5db3d7, v66
	v_fma_f32 v66, -0.5, v61, v0
	v_add_f32_e32 v52, v62, v67
	v_sub_f32_e32 v58, v62, v67
	v_sub_f32_e32 v0, v75, v96
	v_mov_b32_e32 v67, v66
	v_fmac_f32_e32 v67, 0xbf5db3d7, v0
	v_fmac_f32_e32 v66, 0x3f5db3d7, v0
	v_add_f32_e32 v0, v1, v75
	v_add_f32_e32 v54, v60, v68
	v_sub_f32_e32 v60, v60, v68
	v_add_f32_e32 v68, v0, v96
	v_add_f32_e32 v0, v75, v96
	v_fma_f32 v70, -0.5, v0, v1
	v_sub_f32_e32 v0, v74, v95
	v_mov_b32_e32 v71, v70
	v_fmac_f32_e32 v71, 0x3f5db3d7, v0
	v_fmac_f32_e32 v70, 0xbf5db3d7, v0
	v_add_f32_e32 v0, v72, v76
	v_add_f32_e32 v69, v0, v97
	v_add_f32_e32 v0, v76, v97
	v_fmac_f32_e32 v72, -0.5, v0
	v_sub_f32_e32 v0, v94, v98
	v_mov_b32_e32 v62, v72
	v_fmac_f32_e32 v62, 0xbf5db3d7, v0
	v_fmac_f32_e32 v72, 0x3f5db3d7, v0
	v_add_f32_e32 v0, v73, v94
	v_add_f32_e32 v74, v0, v98
	;; [unrolled: 1-line block ×3, first 2 shown]
	v_fmac_f32_e32 v73, -0.5, v0
	v_add_f32_e32 v51, v57, v64
	v_sub_f32_e32 v57, v57, v64
	v_sub_f32_e32 v0, v76, v97
	v_mov_b32_e32 v64, v73
	v_fmac_f32_e32 v64, 0x3f5db3d7, v0
	v_fmac_f32_e32 v73, 0xbf5db3d7, v0
	v_mul_f32_e32 v76, 0xbf5db3d7, v73
	v_mul_f32_e32 v78, 0.5, v64
	v_mul_f32_e32 v75, 0xbf5db3d7, v64
	v_fmac_f32_e32 v76, -0.5, v72
	v_fmac_f32_e32 v78, 0x3f5db3d7, v62
	v_add_f32_e32 v0, v65, v69
	v_fmac_f32_e32 v75, 0.5, v62
	v_add_f32_e32 v63, v66, v76
	v_add_f32_e32 v1, v68, v74
	;; [unrolled: 1-line block ×3, first 2 shown]
	v_sub_f32_e32 v65, v65, v69
	v_sub_f32_e32 v69, v66, v76
	;; [unrolled: 1-line block ×4, first 2 shown]
	v_add_f32_e32 v71, v2, v101
	v_add_f32_e32 v78, v71, v105
	;; [unrolled: 1-line block ×3, first 2 shown]
	v_fma_f32 v2, -0.5, v71, v2
	v_sub_f32_e32 v71, v102, v106
	v_mov_b32_e32 v79, v2
	v_fmac_f32_e32 v79, 0xbf5db3d7, v71
	v_fmac_f32_e32 v2, 0x3f5db3d7, v71
	v_add_f32_e32 v71, v3, v102
	v_add_f32_e32 v95, v71, v106
	;; [unrolled: 1-line block ×3, first 2 shown]
	v_fmac_f32_e32 v3, -0.5, v71
	v_sub_f32_e32 v71, v101, v105
	v_mov_b32_e32 v96, v3
	v_fmac_f32_e32 v96, 0x3f5db3d7, v71
	v_fmac_f32_e32 v3, 0xbf5db3d7, v71
	v_add_f32_e32 v71, v99, v103
	v_add_f32_e32 v94, v71, v107
	;; [unrolled: 1-line block ×3, first 2 shown]
	v_fmac_f32_e32 v99, -0.5, v71
	v_sub_f32_e32 v71, v104, v77
	v_mov_b32_e32 v74, v99
	v_fmac_f32_e32 v74, 0xbf5db3d7, v71
	v_fmac_f32_e32 v99, 0x3f5db3d7, v71
	v_add_f32_e32 v71, v100, v104
	v_add_f32_e32 v97, v71, v77
	;; [unrolled: 1-line block ×3, first 2 shown]
	ds_write2_b64 v86, v[13:14], v[15:16] offset1:60
	ds_write2_b64 v86, v[17:18], v[19:20] offset0:120 offset1:180
	ds_write2_b64 v93, v[21:22], v[25:26] offset0:112 offset1:172
	;; [unrolled: 1-line block ×5, first 2 shown]
	v_add_u32_e32 v13, 0x1400, v11
	v_add_u32_e32 v11, 0x1800, v11
	v_fmac_f32_e32 v100, -0.5, v71
	ds_write2_b64 v13, v[37:38], v[39:40] offset0:80 offset1:140
	ds_write2_b64 v11, v[41:42], v[43:44] offset0:72 offset1:132
	ds_write2_b64 v11, v[45:46], v[47:48] offset0:192 offset1:252
	v_lshl_add_u32 v11, v12, 3, 0
	v_mul_f32_e32 v73, -0.5, v73
	v_sub_f32_e32 v71, v103, v107
	v_mov_b32_e32 v76, v100
	v_add_u32_e32 v12, 0x2000, v11
	v_add_u32_e32 v11, 0x2800, v11
	v_add_f32_e32 v61, v67, v75
	v_fmac_f32_e32 v73, 0x3f5db3d7, v72
	v_fmac_f32_e32 v76, 0x3f5db3d7, v71
	;; [unrolled: 1-line block ×3, first 2 shown]
	ds_write2_b64 v12, v[49:50], v[51:52] offset0:56 offset1:116
	ds_write2_b64 v12, v[53:54], v[55:56] offset0:176 offset1:236
	;; [unrolled: 1-line block ×3, first 2 shown]
	v_add_u32_e32 v11, 0x2800, v10
	v_add_f32_e32 v64, v70, v73
	v_mul_f32_e32 v98, 0xbf5db3d7, v76
	v_mul_f32_e32 v101, 0xbf5db3d7, v100
	v_mul_f32_e32 v102, 0.5, v76
	v_mul_f32_e32 v100, -0.5, v100
	ds_write2_b64 v11, v[0:1], v[61:62] offset0:160 offset1:220
	v_add_u32_e32 v0, 0x3000, v10
	v_sub_f32_e32 v67, v67, v75
	v_sub_f32_e32 v70, v70, v73
	v_fmac_f32_e32 v98, 0.5, v74
	v_fmac_f32_e32 v101, -0.5, v99
	v_fmac_f32_e32 v102, 0x3f5db3d7, v74
	v_fmac_f32_e32 v100, 0x3f5db3d7, v99
	ds_write2_b64 v0, v[63:64], v[65:66] offset0:24 offset1:84
	ds_write2_b64 v0, v[67:68], v[69:70] offset0:144 offset1:204
	v_lshl_add_u32 v0, v8, 3, 0
	v_add_f32_e32 v71, v78, v94
	v_add_f32_e32 v73, v79, v98
	;; [unrolled: 1-line block ×6, first 2 shown]
	v_sub_f32_e32 v77, v78, v94
	v_sub_f32_e32 v94, v79, v98
	;; [unrolled: 1-line block ×6, first 2 shown]
	v_add_u32_e32 v1, 0x3800, v0
	v_add_u32_e32 v0, 0x3c00, v0
	ds_write2_b64 v1, v[71:72], v[73:74] offset0:8 offset1:68
	ds_write2_b64 v1, v[75:76], v[77:78] offset0:128 offset1:188
	;; [unrolled: 1-line block ×3, first 2 shown]
	s_waitcnt lgkmcnt(0)
	; wave barrier
	s_waitcnt lgkmcnt(0)
	global_load_dwordx4 v[10:13], v9, s[12:13] offset:2800
	global_load_dwordx4 v[14:17], v9, s[12:13] offset:2816
	v_mul_u32_u24_e32 v0, 5, v7
	v_lshlrev_b32_e32 v120, 3, v0
	global_load_dwordx4 v[18:21], v120, s[12:13] offset:2800
	global_load_dwordx4 v[22:25], v120, s[12:13] offset:2816
	v_mov_b32_e32 v0, s13
	v_add_co_u32_e32 v7, vcc, s12, v120
	v_addc_co_u32_e32 v8, vcc, 0, v0, vcc
	v_add_co_u32_e32 v0, vcc, s6, v7
	v_addc_co_u32_e32 v1, vcc, 0, v8, vcc
	global_load_dwordx4 v[26:29], v[0:1], off offset:1104
	global_load_dwordx2 v[78:79], v9, s[12:13] offset:2832
	global_load_dwordx4 v[30:33], v[0:1], off offset:3504
	global_load_dwordx2 v[114:115], v120, s[12:13] offset:2832
	v_add_co_u32_e32 v0, vcc, s4, v7
	v_addc_co_u32_e32 v1, vcc, 0, v8, vcc
	s_movk_i32 s4, 0x1db0
	v_add_co_u32_e32 v7, vcc, s4, v7
	ds_read2_b64 v[34:37], v86 offset1:60
	ds_read2_b64 v[38:41], v89 offset0:104 offset1:164
	ds_read2_b64 v[42:45], v5 offset0:80 offset1:140
	;; [unrolled: 1-line block ×9, first 2 shown]
	global_load_dwordx2 v[116:117], v[0:1], off offset:32
	global_load_dwordx4 v[74:77], v[0:1], off offset:16
	v_addc_co_u32_e32 v8, vcc, 0, v8, vcc
	ds_read2_b64 v[94:97], v88 offset0:24 offset1:84
	ds_read2_b64 v[98:101], v91 offset0:128 offset1:188
	;; [unrolled: 1-line block ×4, first 2 shown]
	global_load_dwordx2 v[118:119], v[7:8], off offset:32
	global_load_dwordx4 v[106:109], v[7:8], off offset:16
	s_waitcnt vmcnt(11) lgkmcnt(12)
	v_mul_f32_e32 v121, v11, v39
	v_mul_f32_e32 v7, v11, v38
	v_fmac_f32_e32 v121, v10, v38
	v_fma_f32 v122, v10, v39, -v7
	s_waitcnt lgkmcnt(11)
	v_mul_f32_e32 v7, v13, v42
	s_waitcnt vmcnt(10) lgkmcnt(10)
	v_mul_f32_e32 v125, v47, v15
	v_add_u32_e32 v38, 0x1c20, v120
	v_mul_f32_e32 v11, v46, v15
	v_mul_f32_e32 v123, v13, v43
	v_fma_f32 v124, v12, v43, -v7
	v_fmac_f32_e32 v125, v46, v14
	global_load_dwordx4 v[7:10], v38, s[12:13] offset:2816
	global_load_dwordx4 v[110:113], v38, s[12:13] offset:2800
	v_fma_f32 v46, v47, v14, -v11
	s_waitcnt lgkmcnt(9)
	v_mul_f32_e32 v47, v51, v17
	v_mul_f32_e32 v11, v50, v17
	v_fmac_f32_e32 v123, v12, v42
	v_fmac_f32_e32 v47, v50, v16
	v_fma_f32 v50, v51, v16, -v11
	s_waitcnt vmcnt(11)
	v_mul_f32_e32 v51, v41, v19
	v_mul_f32_e32 v11, v40, v19
	;; [unrolled: 1-line block ×3, first 2 shown]
	global_load_dwordx2 v[42:43], v38, s[12:13] offset:2832
	v_add_u32_e32 v38, 0x2580, v120
	v_fmac_f32_e32 v51, v40, v18
	v_fma_f32 v126, v41, v18, -v11
	v_fma_f32 v128, v45, v20, -v15
	s_waitcnt vmcnt(11)
	v_mul_f32_e32 v129, v49, v23
	global_load_dwordx4 v[15:18], v38, s[12:13] offset:2800
	v_mul_f32_e32 v19, v48, v23
	v_mul_f32_e32 v127, v45, v21
	v_fmac_f32_e32 v129, v48, v22
	v_fma_f32 v48, v49, v22, -v19
	v_mul_f32_e32 v49, v53, v25
	v_mul_f32_e32 v19, v52, v25
	ds_read2_b64 v[11:14], v81 offset0:192 offset1:252
	v_fmac_f32_e32 v127, v44, v20
	v_fmac_f32_e32 v49, v52, v24
	v_fma_f32 v52, v53, v24, -v19
	global_load_dwordx2 v[44:45], v38, s[12:13] offset:2832
	global_load_dwordx4 v[19:22], v38, s[12:13] offset:2816
	s_waitcnt vmcnt(13) lgkmcnt(7)
	v_mul_f32_e32 v53, v63, v27
	v_mul_f32_e32 v23, v62, v27
	v_fmac_f32_e32 v53, v62, v26
	v_fma_f32 v62, v63, v26, -v23
	s_waitcnt lgkmcnt(6)
	v_mul_f32_e32 v63, v67, v29
	v_mul_f32_e32 v23, v66, v29
	v_fmac_f32_e32 v63, v66, v28
	v_fma_f32 v66, v67, v28, -v23
	s_waitcnt vmcnt(11)
	v_mul_f32_e32 v67, v65, v31
	v_mul_f32_e32 v27, v64, v31
	v_fmac_f32_e32 v67, v64, v30
	v_fma_f32 v64, v65, v30, -v27
	v_mul_f32_e32 v65, v69, v33
	v_mul_f32_e32 v27, v68, v33
	ds_read2_b64 v[23:26], v87 offset0:40 offset1:100
	v_fmac_f32_e32 v65, v68, v32
	v_fma_f32 v68, v69, v32, -v27
	v_mul_f32_e32 v31, v55, v79
	v_mul_f32_e32 v32, v54, v79
	s_waitcnt vmcnt(10)
	v_mul_f32_e32 v33, v57, v115
	v_fmac_f32_e32 v31, v54, v78
	v_fma_f32 v32, v55, v78, -v32
	v_fmac_f32_e32 v33, v56, v114
	v_mul_f32_e32 v54, v56, v115
	s_waitcnt vmcnt(8) lgkmcnt(6)
	v_mul_f32_e32 v55, v71, v75
	v_mul_f32_e32 v56, v70, v75
	ds_read2_b64 v[27:30], v88 offset0:144 offset1:204
	ds_read2_b64 v[38:41], v6 offset0:120 offset1:180
	v_fmac_f32_e32 v55, v70, v74
	v_fma_f32 v56, v71, v74, -v56
	s_waitcnt vmcnt(6)
	v_mul_f32_e32 v74, v73, v107
	v_fmac_f32_e32 v74, v72, v106
	v_mul_f32_e32 v72, v72, v107
	v_fma_f32 v72, v73, v106, -v72
	s_waitcnt lgkmcnt(7)
	v_mul_f32_e32 v73, v97, v109
	v_fmac_f32_e32 v73, v96, v108
	v_mul_f32_e32 v75, v96, v109
	s_waitcnt lgkmcnt(6)
	v_mul_f32_e32 v71, v98, v117
	v_fma_f32 v75, v97, v108, -v75
	v_fma_f32 v54, v57, v114, -v54
	v_mul_f32_e32 v57, v95, v77
	v_mul_f32_e32 v69, v94, v77
	v_mul_f32_e32 v70, v99, v117
	v_fma_f32 v71, v99, v116, -v71
	v_mul_f32_e32 v77, v100, v119
	v_fmac_f32_e32 v57, v94, v76
	v_fma_f32 v69, v95, v76, -v69
	v_mul_f32_e32 v76, v101, v119
	v_fma_f32 v77, v101, v118, -v77
	v_fmac_f32_e32 v70, v98, v116
	v_fmac_f32_e32 v76, v100, v118
	s_waitcnt vmcnt(5) lgkmcnt(0)
	v_mul_f32_e32 v96, v24, v8
	v_mul_f32_e32 v8, v23, v8
	v_fmac_f32_e32 v96, v23, v7
	v_fma_f32 v97, v24, v7, -v8
	v_mul_f32_e32 v7, v27, v10
	v_fma_f32 v99, v28, v9, -v7
	s_waitcnt vmcnt(4)
	v_mul_f32_e32 v79, v102, v111
	v_mul_f32_e32 v78, v103, v111
	v_fma_f32 v79, v103, v110, -v79
	v_fmac_f32_e32 v78, v102, v110
	v_mul_f32_e32 v98, v28, v10
	s_waitcnt vmcnt(3)
	v_mul_f32_e32 v7, v38, v43
	v_fma_f32 v101, v39, v42, -v7
	v_mul_f32_e32 v94, v12, v113
	v_fmac_f32_e32 v94, v11, v112
	v_mul_f32_e32 v11, v11, v113
	v_fma_f32 v95, v12, v112, -v11
	s_waitcnt vmcnt(2)
	v_mul_f32_e32 v7, v104, v16
	v_fma_f32 v103, v105, v15, -v7
	v_mul_f32_e32 v7, v13, v18
	v_mul_f32_e32 v102, v105, v16
	v_fma_f32 v105, v14, v17, -v7
	v_fmac_f32_e32 v102, v104, v15
	v_mul_f32_e32 v104, v14, v18
	v_fmac_f32_e32 v104, v13, v17
	v_fmac_f32_e32 v98, v27, v9
	v_mul_f32_e32 v100, v39, v43
	v_fmac_f32_e32 v100, v38, v42
	s_waitcnt vmcnt(0)
	v_mul_f32_e32 v7, v25, v20
	v_fma_f32 v107, v26, v19, -v7
	v_mul_f32_e32 v7, v29, v22
	v_fma_f32 v109, v30, v21, -v7
	;; [unrolled: 2-line block ×3, first 2 shown]
	v_add_f32_e32 v7, v34, v123
	v_add_f32_e32 v13, v7, v47
	;; [unrolled: 1-line block ×3, first 2 shown]
	v_fma_f32 v14, -0.5, v7, v34
	v_sub_f32_e32 v7, v124, v50
	v_mov_b32_e32 v15, v14
	v_fmac_f32_e32 v15, 0xbf5db3d7, v7
	v_fmac_f32_e32 v14, 0x3f5db3d7, v7
	v_add_f32_e32 v7, v35, v124
	v_add_f32_e32 v16, v7, v50
	;; [unrolled: 1-line block ×3, first 2 shown]
	v_mul_f32_e32 v106, v26, v20
	v_fma_f32 v18, -0.5, v7, v35
	v_fmac_f32_e32 v106, v25, v19
	v_sub_f32_e32 v7, v123, v47
	v_mov_b32_e32 v19, v18
	v_fmac_f32_e32 v19, 0x3f5db3d7, v7
	v_fmac_f32_e32 v18, 0xbf5db3d7, v7
	v_add_f32_e32 v7, v121, v125
	v_add_f32_e32 v17, v7, v31
	;; [unrolled: 1-line block ×3, first 2 shown]
	v_fmac_f32_e32 v121, -0.5, v7
	v_sub_f32_e32 v7, v46, v32
	v_mov_b32_e32 v10, v121
	v_fmac_f32_e32 v10, 0xbf5db3d7, v7
	v_fmac_f32_e32 v121, 0x3f5db3d7, v7
	v_add_f32_e32 v7, v122, v46
	v_add_f32_e32 v20, v7, v32
	;; [unrolled: 1-line block ×3, first 2 shown]
	v_fmac_f32_e32 v122, -0.5, v7
	v_sub_f32_e32 v7, v125, v31
	v_mov_b32_e32 v12, v122
	v_fmac_f32_e32 v12, 0x3f5db3d7, v7
	v_fmac_f32_e32 v122, 0xbf5db3d7, v7
	v_mul_f32_e32 v108, v30, v22
	v_mul_f32_e32 v22, 0xbf5db3d7, v122
	v_mul_f32_e32 v23, 0.5, v12
	v_fmac_f32_e32 v108, v29, v21
	v_mul_f32_e32 v21, 0xbf5db3d7, v12
	v_fmac_f32_e32 v22, -0.5, v121
	v_fmac_f32_e32 v23, 0x3f5db3d7, v10
	v_add_f32_e32 v7, v13, v17
	v_fmac_f32_e32 v21, 0.5, v10
	v_add_f32_e32 v11, v14, v22
	v_add_f32_e32 v8, v16, v20
	;; [unrolled: 1-line block ×3, first 2 shown]
	v_sub_f32_e32 v13, v13, v17
	v_sub_f32_e32 v17, v14, v22
	;; [unrolled: 1-line block ×4, first 2 shown]
	v_add_f32_e32 v19, v36, v127
	v_add_f32_e32 v25, v19, v49
	;; [unrolled: 1-line block ×3, first 2 shown]
	v_fma_f32 v26, -0.5, v19, v36
	v_sub_f32_e32 v19, v128, v52
	v_mov_b32_e32 v27, v26
	v_fmac_f32_e32 v27, 0xbf5db3d7, v19
	v_fmac_f32_e32 v26, 0x3f5db3d7, v19
	v_add_f32_e32 v19, v37, v128
	v_add_f32_e32 v28, v19, v52
	;; [unrolled: 1-line block ×3, first 2 shown]
	v_fmac_f32_e32 v37, -0.5, v19
	v_sub_f32_e32 v19, v127, v49
	v_mov_b32_e32 v30, v37
	v_fmac_f32_e32 v30, 0x3f5db3d7, v19
	v_fmac_f32_e32 v37, 0xbf5db3d7, v19
	v_add_f32_e32 v19, v51, v129
	v_add_f32_e32 v29, v19, v33
	;; [unrolled: 1-line block ×3, first 2 shown]
	v_fmac_f32_e32 v51, -0.5, v19
	v_sub_f32_e32 v19, v48, v54
	v_mov_b32_e32 v22, v51
	v_fmac_f32_e32 v22, 0xbf5db3d7, v19
	v_fmac_f32_e32 v51, 0x3f5db3d7, v19
	v_add_f32_e32 v19, v126, v48
	v_mul_f32_e32 v24, -0.5, v122
	v_add_f32_e32 v31, v19, v54
	v_add_f32_e32 v19, v48, v54
	v_fmac_f32_e32 v24, 0x3f5db3d7, v121
	v_fmac_f32_e32 v126, -0.5, v19
	v_sub_f32_e32 v19, v129, v33
	v_add_f32_e32 v12, v18, v24
	v_sub_f32_e32 v18, v18, v24
	v_mov_b32_e32 v24, v126
	v_fmac_f32_e32 v126, 0xbf5db3d7, v19
	v_fmac_f32_e32 v24, 0x3f5db3d7, v19
	v_mul_f32_e32 v33, 0xbf5db3d7, v126
	v_fmac_f32_e32 v33, -0.5, v51
	v_mul_f32_e32 v34, 0.5, v24
	v_mul_f32_e32 v35, -0.5, v126
	v_add_f32_e32 v19, v25, v29
	v_mul_f32_e32 v32, 0xbf5db3d7, v24
	v_add_f32_e32 v23, v26, v33
	v_add_f32_e32 v20, v28, v31
	v_fmac_f32_e32 v34, 0x3f5db3d7, v22
	v_fmac_f32_e32 v35, 0x3f5db3d7, v51
	v_sub_f32_e32 v25, v25, v29
	v_sub_f32_e32 v29, v26, v33
	;; [unrolled: 1-line block ×3, first 2 shown]
	v_add_f32_e32 v31, v58, v63
	v_fmac_f32_e32 v32, 0.5, v22
	v_add_f32_e32 v22, v30, v34
	v_add_f32_e32 v24, v37, v35
	v_sub_f32_e32 v28, v30, v34
	v_sub_f32_e32 v30, v37, v35
	v_add_f32_e32 v37, v31, v57
	v_add_f32_e32 v31, v63, v57
	v_fma_f32 v38, -0.5, v31, v58
	v_sub_f32_e32 v31, v66, v69
	v_mov_b32_e32 v39, v38
	v_mul_f32_e32 v110, v41, v45
	v_fmac_f32_e32 v39, 0xbf5db3d7, v31
	v_fmac_f32_e32 v38, 0x3f5db3d7, v31
	v_add_f32_e32 v31, v59, v66
	v_fmac_f32_e32 v110, v40, v44
	v_add_f32_e32 v40, v31, v69
	v_add_f32_e32 v31, v66, v69
	v_fma_f32 v42, -0.5, v31, v59
	v_sub_f32_e32 v31, v63, v57
	v_mov_b32_e32 v43, v42
	v_fmac_f32_e32 v43, 0x3f5db3d7, v31
	v_fmac_f32_e32 v42, 0xbf5db3d7, v31
	v_add_f32_e32 v31, v53, v55
	v_add_f32_e32 v41, v31, v70
	;; [unrolled: 1-line block ×3, first 2 shown]
	v_fmac_f32_e32 v53, -0.5, v31
	v_sub_f32_e32 v31, v56, v71
	v_mov_b32_e32 v34, v53
	v_fmac_f32_e32 v34, 0xbf5db3d7, v31
	v_fmac_f32_e32 v53, 0x3f5db3d7, v31
	v_add_f32_e32 v31, v62, v56
	v_add_f32_e32 v44, v31, v71
	v_add_f32_e32 v31, v56, v71
	v_fmac_f32_e32 v62, -0.5, v31
	v_sub_f32_e32 v31, v55, v70
	v_mov_b32_e32 v36, v62
	v_fmac_f32_e32 v36, 0x3f5db3d7, v31
	v_fmac_f32_e32 v62, 0xbf5db3d7, v31
	v_mul_f32_e32 v46, 0xbf5db3d7, v62
	v_mul_f32_e32 v47, 0.5, v36
	v_mul_f32_e32 v45, 0xbf5db3d7, v36
	v_fmac_f32_e32 v46, -0.5, v53
	v_fmac_f32_e32 v47, 0x3f5db3d7, v34
	v_add_f32_e32 v9, v15, v21
	v_sub_f32_e32 v15, v15, v21
	v_add_f32_e32 v21, v27, v32
	v_sub_f32_e32 v27, v27, v32
	v_add_f32_e32 v31, v37, v41
	v_fmac_f32_e32 v45, 0.5, v34
	v_add_f32_e32 v35, v38, v46
	v_add_f32_e32 v32, v40, v44
	v_add_f32_e32 v34, v43, v47
	v_sub_f32_e32 v37, v37, v41
	v_sub_f32_e32 v41, v38, v46
	;; [unrolled: 1-line block ×4, first 2 shown]
	v_add_f32_e32 v43, v60, v65
	v_add_f32_e32 v49, v43, v73
	;; [unrolled: 1-line block ×3, first 2 shown]
	v_fma_f32 v50, -0.5, v43, v60
	v_sub_f32_e32 v43, v68, v75
	v_mov_b32_e32 v51, v50
	v_fmac_f32_e32 v51, 0xbf5db3d7, v43
	v_fmac_f32_e32 v50, 0x3f5db3d7, v43
	v_add_f32_e32 v43, v61, v68
	v_add_f32_e32 v52, v43, v75
	;; [unrolled: 1-line block ×3, first 2 shown]
	v_fmac_f32_e32 v61, -0.5, v43
	v_sub_f32_e32 v43, v65, v73
	v_mov_b32_e32 v54, v61
	v_mul_f32_e32 v48, -0.5, v62
	v_fmac_f32_e32 v54, 0x3f5db3d7, v43
	v_fmac_f32_e32 v61, 0xbf5db3d7, v43
	v_add_f32_e32 v43, v67, v74
	v_fmac_f32_e32 v48, 0x3f5db3d7, v53
	v_add_f32_e32 v53, v43, v76
	v_add_f32_e32 v43, v74, v76
	v_fmac_f32_e32 v67, -0.5, v43
	v_sub_f32_e32 v43, v72, v77
	v_mov_b32_e32 v46, v67
	v_fmac_f32_e32 v46, 0xbf5db3d7, v43
	v_fmac_f32_e32 v67, 0x3f5db3d7, v43
	v_add_f32_e32 v43, v64, v72
	v_add_f32_e32 v55, v43, v77
	;; [unrolled: 1-line block ×3, first 2 shown]
	v_fmac_f32_e32 v64, -0.5, v43
	v_sub_f32_e32 v43, v74, v76
	v_add_f32_e32 v36, v42, v48
	v_sub_f32_e32 v42, v42, v48
	v_mov_b32_e32 v48, v64
	v_fmac_f32_e32 v64, 0xbf5db3d7, v43
	v_fmac_f32_e32 v48, 0x3f5db3d7, v43
	v_mul_f32_e32 v57, 0xbf5db3d7, v64
	v_fmac_f32_e32 v57, -0.5, v67
	v_mul_f32_e32 v58, 0.5, v48
	v_mul_f32_e32 v59, -0.5, v64
	v_add_f32_e32 v43, v49, v53
	v_mul_f32_e32 v56, 0xbf5db3d7, v48
	v_add_f32_e32 v47, v50, v57
	v_add_f32_e32 v44, v52, v55
	v_fmac_f32_e32 v58, 0x3f5db3d7, v46
	v_fmac_f32_e32 v59, 0x3f5db3d7, v67
	v_sub_f32_e32 v49, v49, v53
	v_sub_f32_e32 v53, v50, v57
	;; [unrolled: 1-line block ×3, first 2 shown]
	v_add_f32_e32 v55, v0, v94
	v_fmac_f32_e32 v56, 0.5, v46
	v_add_f32_e32 v46, v54, v58
	v_add_f32_e32 v48, v61, v59
	v_sub_f32_e32 v52, v54, v58
	v_sub_f32_e32 v54, v61, v59
	v_add_f32_e32 v59, v55, v98
	v_add_f32_e32 v55, v94, v98
	v_fma_f32 v60, -0.5, v55, v0
	v_sub_f32_e32 v0, v95, v99
	v_mov_b32_e32 v61, v60
	v_fmac_f32_e32 v61, 0xbf5db3d7, v0
	v_fmac_f32_e32 v60, 0x3f5db3d7, v0
	v_add_f32_e32 v0, v1, v95
	v_add_f32_e32 v62, v0, v99
	;; [unrolled: 1-line block ×3, first 2 shown]
	v_fma_f32 v64, -0.5, v0, v1
	v_sub_f32_e32 v0, v94, v98
	v_mov_b32_e32 v65, v64
	v_fmac_f32_e32 v65, 0x3f5db3d7, v0
	v_fmac_f32_e32 v64, 0xbf5db3d7, v0
	v_add_f32_e32 v0, v78, v96
	v_add_f32_e32 v63, v0, v100
	;; [unrolled: 1-line block ×3, first 2 shown]
	v_fmac_f32_e32 v78, -0.5, v0
	v_add_f32_e32 v33, v39, v45
	v_sub_f32_e32 v39, v39, v45
	v_add_f32_e32 v45, v51, v56
	v_sub_f32_e32 v51, v51, v56
	v_sub_f32_e32 v0, v97, v101
	v_mov_b32_e32 v56, v78
	v_fmac_f32_e32 v56, 0xbf5db3d7, v0
	v_fmac_f32_e32 v78, 0x3f5db3d7, v0
	v_add_f32_e32 v0, v79, v97
	v_add_f32_e32 v66, v0, v101
	;; [unrolled: 1-line block ×3, first 2 shown]
	v_fmac_f32_e32 v79, -0.5, v0
	v_sub_f32_e32 v0, v96, v100
	v_mov_b32_e32 v58, v79
	v_fmac_f32_e32 v58, 0x3f5db3d7, v0
	v_fmac_f32_e32 v79, 0xbf5db3d7, v0
	v_mul_f32_e32 v68, 0xbf5db3d7, v79
	v_mul_f32_e32 v69, 0.5, v58
	v_mul_f32_e32 v67, 0xbf5db3d7, v58
	v_fmac_f32_e32 v68, -0.5, v78
	v_fmac_f32_e32 v69, 0x3f5db3d7, v56
	v_add_f32_e32 v0, v59, v63
	v_fmac_f32_e32 v67, 0.5, v56
	v_add_f32_e32 v57, v60, v68
	v_add_f32_e32 v1, v62, v66
	;; [unrolled: 1-line block ×3, first 2 shown]
	v_sub_f32_e32 v59, v59, v63
	v_sub_f32_e32 v63, v60, v68
	;; [unrolled: 1-line block ×4, first 2 shown]
	v_add_f32_e32 v65, v2, v104
	v_add_f32_e32 v71, v65, v108
	;; [unrolled: 1-line block ×3, first 2 shown]
	v_fma_f32 v2, -0.5, v65, v2
	v_sub_f32_e32 v65, v105, v109
	v_mov_b32_e32 v72, v2
	v_fmac_f32_e32 v72, 0xbf5db3d7, v65
	v_fmac_f32_e32 v2, 0x3f5db3d7, v65
	v_add_f32_e32 v65, v3, v105
	v_add_f32_e32 v74, v65, v109
	;; [unrolled: 1-line block ×3, first 2 shown]
	v_fmac_f32_e32 v3, -0.5, v65
	v_sub_f32_e32 v65, v104, v108
	v_mov_b32_e32 v75, v3
	v_fmac_f32_e32 v75, 0x3f5db3d7, v65
	v_fmac_f32_e32 v3, 0xbf5db3d7, v65
	v_add_f32_e32 v65, v102, v106
	v_add_f32_e32 v73, v65, v110
	;; [unrolled: 1-line block ×3, first 2 shown]
	v_fmac_f32_e32 v102, -0.5, v65
	v_sub_f32_e32 v65, v107, v111
	v_mov_b32_e32 v68, v102
	v_fmac_f32_e32 v68, 0xbf5db3d7, v65
	v_fmac_f32_e32 v102, 0x3f5db3d7, v65
	v_add_f32_e32 v65, v103, v107
	v_mul_f32_e32 v70, -0.5, v79
	v_add_f32_e32 v76, v65, v111
	v_add_f32_e32 v65, v107, v111
	v_fmac_f32_e32 v70, 0x3f5db3d7, v78
	v_fmac_f32_e32 v103, -0.5, v65
	v_add_f32_e32 v58, v64, v70
	v_sub_f32_e32 v64, v64, v70
	v_sub_f32_e32 v65, v106, v110
	v_mov_b32_e32 v70, v103
	v_fmac_f32_e32 v70, 0x3f5db3d7, v65
	v_fmac_f32_e32 v103, 0xbf5db3d7, v65
	v_mul_f32_e32 v77, 0xbf5db3d7, v70
	v_mul_f32_e32 v78, 0xbf5db3d7, v103
	v_mul_f32_e32 v79, 0.5, v70
	v_mul_f32_e32 v94, -0.5, v103
	v_fmac_f32_e32 v77, 0.5, v68
	v_fmac_f32_e32 v78, -0.5, v102
	v_fmac_f32_e32 v79, 0x3f5db3d7, v68
	v_fmac_f32_e32 v94, 0x3f5db3d7, v102
	v_add_f32_e32 v55, v61, v67
	v_sub_f32_e32 v61, v61, v67
	v_add_f32_e32 v65, v71, v73
	v_add_f32_e32 v67, v72, v77
	;; [unrolled: 1-line block ×6, first 2 shown]
	v_sub_f32_e32 v71, v71, v73
	v_sub_f32_e32 v73, v72, v77
	;; [unrolled: 1-line block ×6, first 2 shown]
	; wave barrier
	ds_write2_b64 v86, v[7:8], v[19:20] offset1:60
	ds_write2_b64 v89, v[9:10], v[21:22] offset0:104 offset1:164
	ds_write2_b64 v5, v[11:12], v[23:24] offset0:80 offset1:140
	;; [unrolled: 1-line block ×17, first 2 shown]
	s_waitcnt lgkmcnt(0)
	; wave barrier
	s_waitcnt lgkmcnt(0)
	s_and_saveexec_b64 s[4:5], s[0:1]
	s_cbranch_execz .LBB0_23
; %bb.22:
	v_mul_lo_u32 v0, s3, v84
	v_mul_lo_u32 v1, s2, v85
	v_mad_u64_u32 v[4:5], s[0:1], s2, v84, 0
	v_mov_b32_e32 v7, s11
	v_lshl_add_u32 v6, v80, 3, 0
	v_add3_u32 v5, v5, v1, v0
	v_lshlrev_b64 v[4:5], 3, v[4:5]
	v_mov_b32_e32 v81, 0
	v_add_co_u32_e32 v8, vcc, s10, v4
	v_addc_co_u32_e32 v7, vcc, v7, v5, vcc
	v_lshlrev_b64 v[4:5], 3, v[82:83]
	ds_read2_b64 v[0:3], v6 offset1:60
	v_add_co_u32_e32 v8, vcc, v8, v4
	v_addc_co_u32_e32 v7, vcc, v7, v5, vcc
	v_lshlrev_b64 v[4:5], 3, v[80:81]
	v_add_u32_e32 v9, 0x1800, v6
	v_add_co_u32_e32 v4, vcc, v8, v4
	v_addc_co_u32_e32 v5, vcc, v7, v5, vcc
	s_waitcnt lgkmcnt(0)
	global_store_dwordx2 v[4:5], v[0:1], off
	v_add_u32_e32 v0, 60, v80
	v_mov_b32_e32 v1, v81
	v_lshlrev_b64 v[0:1], 3, v[0:1]
	v_add_u32_e32 v4, 0x78, v80
	v_add_co_u32_e32 v0, vcc, v8, v0
	v_addc_co_u32_e32 v1, vcc, v7, v1, vcc
	global_store_dwordx2 v[0:1], v[2:3], off
	v_mov_b32_e32 v5, v81
	ds_read2_b64 v[0:3], v6 offset0:120 offset1:180
	v_lshlrev_b64 v[4:5], 3, v[4:5]
	v_add_co_u32_e32 v4, vcc, v8, v4
	v_addc_co_u32_e32 v5, vcc, v7, v5, vcc
	s_waitcnt lgkmcnt(0)
	global_store_dwordx2 v[4:5], v[0:1], off
	v_add_u32_e32 v0, 0xb4, v80
	v_mov_b32_e32 v1, v81
	v_lshlrev_b64 v[0:1], 3, v[0:1]
	v_add_u32_e32 v4, 0xf0, v80
	v_add_co_u32_e32 v0, vcc, v8, v0
	v_addc_co_u32_e32 v1, vcc, v7, v1, vcc
	global_store_dwordx2 v[0:1], v[2:3], off
	v_add_u32_e32 v0, 0x400, v6
	v_mov_b32_e32 v5, v81
	ds_read2_b64 v[0:3], v0 offset0:112 offset1:172
	v_lshlrev_b64 v[4:5], 3, v[4:5]
	v_add_co_u32_e32 v4, vcc, v8, v4
	v_addc_co_u32_e32 v5, vcc, v7, v5, vcc
	s_waitcnt lgkmcnt(0)
	global_store_dwordx2 v[4:5], v[0:1], off
	v_add_u32_e32 v0, 0x12c, v80
	v_mov_b32_e32 v1, v81
	v_lshlrev_b64 v[0:1], 3, v[0:1]
	v_add_u32_e32 v4, 0x168, v80
	v_add_co_u32_e32 v0, vcc, v8, v0
	v_addc_co_u32_e32 v1, vcc, v7, v1, vcc
	global_store_dwordx2 v[0:1], v[2:3], off
	v_add_u32_e32 v0, 0x800, v6
	;; [unrolled: 15-line block ×5, first 2 shown]
	v_mov_b32_e32 v5, v81
	ds_read2_b64 v[0:3], v0 offset0:80 offset1:140
	v_lshlrev_b64 v[4:5], 3, v[4:5]
	v_add_co_u32_e32 v4, vcc, v8, v4
	v_addc_co_u32_e32 v5, vcc, v7, v5, vcc
	s_waitcnt lgkmcnt(0)
	global_store_dwordx2 v[4:5], v[0:1], off
	v_add_u32_e32 v0, 0x30c, v80
	v_mov_b32_e32 v1, v81
	v_lshlrev_b64 v[0:1], 3, v[0:1]
	v_add_u32_e32 v4, 0x348, v80
	v_add_co_u32_e32 v0, vcc, v8, v0
	v_addc_co_u32_e32 v1, vcc, v7, v1, vcc
	global_store_dwordx2 v[0:1], v[2:3], off
	v_mov_b32_e32 v5, v81
	ds_read2_b64 v[0:3], v9 offset0:72 offset1:132
	v_lshlrev_b64 v[4:5], 3, v[4:5]
	v_add_co_u32_e32 v4, vcc, v8, v4
	v_addc_co_u32_e32 v5, vcc, v7, v5, vcc
	s_waitcnt lgkmcnt(0)
	global_store_dwordx2 v[4:5], v[0:1], off
	v_add_u32_e32 v0, 0x384, v80
	v_mov_b32_e32 v1, v81
	v_lshlrev_b64 v[0:1], 3, v[0:1]
	v_add_u32_e32 v4, 0x3c0, v80
	v_add_co_u32_e32 v0, vcc, v8, v0
	v_addc_co_u32_e32 v1, vcc, v7, v1, vcc
	global_store_dwordx2 v[0:1], v[2:3], off
	v_mov_b32_e32 v5, v81
	ds_read2_b64 v[0:3], v9 offset0:192 offset1:252
	v_lshlrev_b64 v[4:5], 3, v[4:5]
	v_add_u32_e32 v9, 0x2000, v6
	v_add_co_u32_e32 v4, vcc, v8, v4
	v_addc_co_u32_e32 v5, vcc, v7, v5, vcc
	s_waitcnt lgkmcnt(0)
	global_store_dwordx2 v[4:5], v[0:1], off
	v_add_u32_e32 v0, 0x3fc, v80
	v_mov_b32_e32 v1, v81
	v_lshlrev_b64 v[0:1], 3, v[0:1]
	v_add_u32_e32 v4, 0x438, v80
	v_add_co_u32_e32 v0, vcc, v8, v0
	v_addc_co_u32_e32 v1, vcc, v7, v1, vcc
	global_store_dwordx2 v[0:1], v[2:3], off
	v_mov_b32_e32 v5, v81
	ds_read2_b64 v[0:3], v9 offset0:56 offset1:116
	v_lshlrev_b64 v[4:5], 3, v[4:5]
	v_add_co_u32_e32 v4, vcc, v8, v4
	v_addc_co_u32_e32 v5, vcc, v7, v5, vcc
	s_waitcnt lgkmcnt(0)
	global_store_dwordx2 v[4:5], v[0:1], off
	v_add_u32_e32 v0, 0x474, v80
	v_mov_b32_e32 v1, v81
	v_lshlrev_b64 v[0:1], 3, v[0:1]
	v_add_u32_e32 v4, 0x4b0, v80
	v_add_co_u32_e32 v0, vcc, v8, v0
	v_addc_co_u32_e32 v1, vcc, v7, v1, vcc
	global_store_dwordx2 v[0:1], v[2:3], off
	v_mov_b32_e32 v5, v81
	ds_read2_b64 v[0:3], v9 offset0:176 offset1:236
	v_lshlrev_b64 v[4:5], 3, v[4:5]
	v_add_u32_e32 v9, 0x2800, v6
	;; [unrolled: 29-line block ×4, first 2 shown]
	v_add_co_u32_e32 v4, vcc, v8, v4
	v_addc_co_u32_e32 v5, vcc, v7, v5, vcc
	s_waitcnt lgkmcnt(0)
	global_store_dwordx2 v[4:5], v[0:1], off
	v_add_u32_e32 v0, 0x6cc, v80
	v_mov_b32_e32 v1, v81
	v_lshlrev_b64 v[0:1], 3, v[0:1]
	v_add_u32_e32 v4, 0x708, v80
	v_add_co_u32_e32 v0, vcc, v8, v0
	v_addc_co_u32_e32 v1, vcc, v7, v1, vcc
	global_store_dwordx2 v[0:1], v[2:3], off
	v_mov_b32_e32 v5, v81
	ds_read2_b64 v[0:3], v9 offset0:8 offset1:68
	v_lshlrev_b64 v[4:5], 3, v[4:5]
	v_add_co_u32_e32 v4, vcc, v8, v4
	v_addc_co_u32_e32 v5, vcc, v7, v5, vcc
	s_waitcnt lgkmcnt(0)
	global_store_dwordx2 v[4:5], v[0:1], off
	v_add_u32_e32 v0, 0x744, v80
	v_mov_b32_e32 v1, v81
	v_lshlrev_b64 v[0:1], 3, v[0:1]
	v_add_u32_e32 v4, 0x780, v80
	v_add_co_u32_e32 v0, vcc, v8, v0
	v_addc_co_u32_e32 v1, vcc, v7, v1, vcc
	global_store_dwordx2 v[0:1], v[2:3], off
	v_mov_b32_e32 v5, v81
	ds_read2_b64 v[0:3], v9 offset0:128 offset1:188
	v_lshlrev_b64 v[4:5], 3, v[4:5]
	v_add_co_u32_e32 v4, vcc, v8, v4
	v_addc_co_u32_e32 v5, vcc, v7, v5, vcc
	s_waitcnt lgkmcnt(0)
	global_store_dwordx2 v[4:5], v[0:1], off
	v_add_u32_e32 v0, 0x7bc, v80
	v_mov_b32_e32 v1, v81
	v_lshlrev_b64 v[0:1], 3, v[0:1]
	v_add_u32_e32 v4, 0x7f8, v80
	v_add_co_u32_e32 v0, vcc, v8, v0
	v_addc_co_u32_e32 v1, vcc, v7, v1, vcc
	global_store_dwordx2 v[0:1], v[2:3], off
	v_add_u32_e32 v0, 0x3c00, v6
	v_mov_b32_e32 v5, v81
	ds_read2_b64 v[0:3], v0 offset0:120 offset1:180
	v_lshlrev_b64 v[4:5], 3, v[4:5]
	v_add_u32_e32 v80, 0x834, v80
	v_add_co_u32_e32 v4, vcc, v8, v4
	v_addc_co_u32_e32 v5, vcc, v7, v5, vcc
	s_waitcnt lgkmcnt(0)
	global_store_dwordx2 v[4:5], v[0:1], off
	v_lshlrev_b64 v[0:1], 3, v[80:81]
	v_add_co_u32_e32 v0, vcc, v8, v0
	v_addc_co_u32_e32 v1, vcc, v7, v1, vcc
	global_store_dwordx2 v[0:1], v[2:3], off
.LBB0_23:
	s_endpgm
	.section	.rodata,"a",@progbits
	.p2align	6, 0x0
	.amdhsa_kernel fft_rtc_back_len2160_factors_10_6_6_6_wgs_60_tpt_60_halfLds_sp_op_CI_CI_unitstride_sbrr_C2R_dirReg
		.amdhsa_group_segment_fixed_size 0
		.amdhsa_private_segment_fixed_size 0
		.amdhsa_kernarg_size 104
		.amdhsa_user_sgpr_count 6
		.amdhsa_user_sgpr_private_segment_buffer 1
		.amdhsa_user_sgpr_dispatch_ptr 0
		.amdhsa_user_sgpr_queue_ptr 0
		.amdhsa_user_sgpr_kernarg_segment_ptr 1
		.amdhsa_user_sgpr_dispatch_id 0
		.amdhsa_user_sgpr_flat_scratch_init 0
		.amdhsa_user_sgpr_private_segment_size 0
		.amdhsa_uses_dynamic_stack 0
		.amdhsa_system_sgpr_private_segment_wavefront_offset 0
		.amdhsa_system_sgpr_workgroup_id_x 1
		.amdhsa_system_sgpr_workgroup_id_y 0
		.amdhsa_system_sgpr_workgroup_id_z 0
		.amdhsa_system_sgpr_workgroup_info 0
		.amdhsa_system_vgpr_workitem_id 0
		.amdhsa_next_free_vgpr 137
		.amdhsa_next_free_sgpr 28
		.amdhsa_reserve_vcc 1
		.amdhsa_reserve_flat_scratch 0
		.amdhsa_float_round_mode_32 0
		.amdhsa_float_round_mode_16_64 0
		.amdhsa_float_denorm_mode_32 3
		.amdhsa_float_denorm_mode_16_64 3
		.amdhsa_dx10_clamp 1
		.amdhsa_ieee_mode 1
		.amdhsa_fp16_overflow 0
		.amdhsa_exception_fp_ieee_invalid_op 0
		.amdhsa_exception_fp_denorm_src 0
		.amdhsa_exception_fp_ieee_div_zero 0
		.amdhsa_exception_fp_ieee_overflow 0
		.amdhsa_exception_fp_ieee_underflow 0
		.amdhsa_exception_fp_ieee_inexact 0
		.amdhsa_exception_int_div_zero 0
	.end_amdhsa_kernel
	.text
.Lfunc_end0:
	.size	fft_rtc_back_len2160_factors_10_6_6_6_wgs_60_tpt_60_halfLds_sp_op_CI_CI_unitstride_sbrr_C2R_dirReg, .Lfunc_end0-fft_rtc_back_len2160_factors_10_6_6_6_wgs_60_tpt_60_halfLds_sp_op_CI_CI_unitstride_sbrr_C2R_dirReg
                                        ; -- End function
	.section	.AMDGPU.csdata,"",@progbits
; Kernel info:
; codeLenInByte = 19012
; NumSgprs: 32
; NumVgprs: 137
; ScratchSize: 0
; MemoryBound: 0
; FloatMode: 240
; IeeeMode: 1
; LDSByteSize: 0 bytes/workgroup (compile time only)
; SGPRBlocks: 3
; VGPRBlocks: 34
; NumSGPRsForWavesPerEU: 32
; NumVGPRsForWavesPerEU: 137
; Occupancy: 1
; WaveLimiterHint : 1
; COMPUTE_PGM_RSRC2:SCRATCH_EN: 0
; COMPUTE_PGM_RSRC2:USER_SGPR: 6
; COMPUTE_PGM_RSRC2:TRAP_HANDLER: 0
; COMPUTE_PGM_RSRC2:TGID_X_EN: 1
; COMPUTE_PGM_RSRC2:TGID_Y_EN: 0
; COMPUTE_PGM_RSRC2:TGID_Z_EN: 0
; COMPUTE_PGM_RSRC2:TIDIG_COMP_CNT: 0
	.type	__hip_cuid_d35941acf9115c6b,@object ; @__hip_cuid_d35941acf9115c6b
	.section	.bss,"aw",@nobits
	.globl	__hip_cuid_d35941acf9115c6b
__hip_cuid_d35941acf9115c6b:
	.byte	0                               ; 0x0
	.size	__hip_cuid_d35941acf9115c6b, 1

	.ident	"AMD clang version 19.0.0git (https://github.com/RadeonOpenCompute/llvm-project roc-6.4.0 25133 c7fe45cf4b819c5991fe208aaa96edf142730f1d)"
	.section	".note.GNU-stack","",@progbits
	.addrsig
	.addrsig_sym __hip_cuid_d35941acf9115c6b
	.amdgpu_metadata
---
amdhsa.kernels:
  - .args:
      - .actual_access:  read_only
        .address_space:  global
        .offset:         0
        .size:           8
        .value_kind:     global_buffer
      - .offset:         8
        .size:           8
        .value_kind:     by_value
      - .actual_access:  read_only
        .address_space:  global
        .offset:         16
        .size:           8
        .value_kind:     global_buffer
      - .actual_access:  read_only
        .address_space:  global
        .offset:         24
        .size:           8
        .value_kind:     global_buffer
      - .actual_access:  read_only
        .address_space:  global
        .offset:         32
        .size:           8
        .value_kind:     global_buffer
      - .offset:         40
        .size:           8
        .value_kind:     by_value
      - .actual_access:  read_only
        .address_space:  global
        .offset:         48
        .size:           8
        .value_kind:     global_buffer
      - .actual_access:  read_only
        .address_space:  global
        .offset:         56
        .size:           8
        .value_kind:     global_buffer
      - .offset:         64
        .size:           4
        .value_kind:     by_value
      - .actual_access:  read_only
        .address_space:  global
        .offset:         72
        .size:           8
        .value_kind:     global_buffer
      - .actual_access:  read_only
        .address_space:  global
        .offset:         80
        .size:           8
        .value_kind:     global_buffer
      - .actual_access:  read_only
        .address_space:  global
        .offset:         88
        .size:           8
        .value_kind:     global_buffer
      - .actual_access:  write_only
        .address_space:  global
        .offset:         96
        .size:           8
        .value_kind:     global_buffer
    .group_segment_fixed_size: 0
    .kernarg_segment_align: 8
    .kernarg_segment_size: 104
    .language:       OpenCL C
    .language_version:
      - 2
      - 0
    .max_flat_workgroup_size: 60
    .name:           fft_rtc_back_len2160_factors_10_6_6_6_wgs_60_tpt_60_halfLds_sp_op_CI_CI_unitstride_sbrr_C2R_dirReg
    .private_segment_fixed_size: 0
    .sgpr_count:     32
    .sgpr_spill_count: 0
    .symbol:         fft_rtc_back_len2160_factors_10_6_6_6_wgs_60_tpt_60_halfLds_sp_op_CI_CI_unitstride_sbrr_C2R_dirReg.kd
    .uniform_work_group_size: 1
    .uses_dynamic_stack: false
    .vgpr_count:     137
    .vgpr_spill_count: 0
    .wavefront_size: 64
amdhsa.target:   amdgcn-amd-amdhsa--gfx906
amdhsa.version:
  - 1
  - 2
...

	.end_amdgpu_metadata
